;; amdgpu-corpus repo=ROCm/rocFFT kind=compiled arch=gfx906 opt=O3
	.text
	.amdgcn_target "amdgcn-amd-amdhsa--gfx906"
	.amdhsa_code_object_version 6
	.protected	fft_rtc_fwd_len1989_factors_17_13_9_wgs_153_tpt_153_halfLds_dp_ip_CI_sbrr_dirReg ; -- Begin function fft_rtc_fwd_len1989_factors_17_13_9_wgs_153_tpt_153_halfLds_dp_ip_CI_sbrr_dirReg
	.globl	fft_rtc_fwd_len1989_factors_17_13_9_wgs_153_tpt_153_halfLds_dp_ip_CI_sbrr_dirReg
	.p2align	8
	.type	fft_rtc_fwd_len1989_factors_17_13_9_wgs_153_tpt_153_halfLds_dp_ip_CI_sbrr_dirReg,@function
fft_rtc_fwd_len1989_factors_17_13_9_wgs_153_tpt_153_halfLds_dp_ip_CI_sbrr_dirReg: ; @fft_rtc_fwd_len1989_factors_17_13_9_wgs_153_tpt_153_halfLds_dp_ip_CI_sbrr_dirReg
; %bb.0:
	s_load_dwordx2 s[2:3], s[4:5], 0x18
	s_load_dwordx4 s[8:11], s[4:5], 0x0
	s_load_dwordx2 s[14:15], s[4:5], 0x50
	v_mul_u32_u24_e32 v1, 0x1ad, v0
	v_add_u32_sdwa v5, s6, v1 dst_sel:DWORD dst_unused:UNUSED_PAD src0_sel:DWORD src1_sel:WORD_1
	s_waitcnt lgkmcnt(0)
	s_load_dwordx2 s[12:13], s[2:3], 0x0
	v_cmp_lt_u64_e64 s[0:1], s[10:11], 2
	v_mov_b32_e32 v3, 0
	v_mov_b32_e32 v1, 0
	;; [unrolled: 1-line block ×3, first 2 shown]
	s_and_b64 vcc, exec, s[0:1]
	v_mov_b32_e32 v2, 0
	s_cbranch_vccnz .LBB0_8
; %bb.1:
	s_load_dwordx2 s[0:1], s[4:5], 0x10
	s_add_u32 s6, s2, 8
	s_addc_u32 s7, s3, 0
	v_mov_b32_e32 v1, 0
	v_mov_b32_e32 v2, 0
	s_waitcnt lgkmcnt(0)
	s_add_u32 s16, s0, 8
	s_addc_u32 s17, s1, 0
	s_mov_b64 s[18:19], 1
.LBB0_2:                                ; =>This Inner Loop Header: Depth=1
	s_load_dwordx2 s[20:21], s[16:17], 0x0
                                        ; implicit-def: $vgpr7_vgpr8
	s_waitcnt lgkmcnt(0)
	v_or_b32_e32 v4, s21, v6
	v_cmp_ne_u64_e32 vcc, 0, v[3:4]
	s_and_saveexec_b64 s[0:1], vcc
	s_xor_b64 s[22:23], exec, s[0:1]
	s_cbranch_execz .LBB0_4
; %bb.3:                                ;   in Loop: Header=BB0_2 Depth=1
	v_cvt_f32_u32_e32 v4, s20
	v_cvt_f32_u32_e32 v7, s21
	s_sub_u32 s0, 0, s20
	s_subb_u32 s1, 0, s21
	v_mac_f32_e32 v4, 0x4f800000, v7
	v_rcp_f32_e32 v4, v4
	v_mul_f32_e32 v4, 0x5f7ffffc, v4
	v_mul_f32_e32 v7, 0x2f800000, v4
	v_trunc_f32_e32 v7, v7
	v_mac_f32_e32 v4, 0xcf800000, v7
	v_cvt_u32_f32_e32 v7, v7
	v_cvt_u32_f32_e32 v4, v4
	v_mul_lo_u32 v8, s0, v7
	v_mul_hi_u32 v9, s0, v4
	v_mul_lo_u32 v11, s1, v4
	v_mul_lo_u32 v10, s0, v4
	v_add_u32_e32 v8, v9, v8
	v_add_u32_e32 v8, v8, v11
	v_mul_hi_u32 v9, v4, v10
	v_mul_lo_u32 v11, v4, v8
	v_mul_hi_u32 v13, v4, v8
	v_mul_hi_u32 v12, v7, v10
	v_mul_lo_u32 v10, v7, v10
	v_mul_hi_u32 v14, v7, v8
	v_add_co_u32_e32 v9, vcc, v9, v11
	v_addc_co_u32_e32 v11, vcc, 0, v13, vcc
	v_mul_lo_u32 v8, v7, v8
	v_add_co_u32_e32 v9, vcc, v9, v10
	v_addc_co_u32_e32 v9, vcc, v11, v12, vcc
	v_addc_co_u32_e32 v10, vcc, 0, v14, vcc
	v_add_co_u32_e32 v8, vcc, v9, v8
	v_addc_co_u32_e32 v9, vcc, 0, v10, vcc
	v_add_co_u32_e32 v4, vcc, v4, v8
	v_addc_co_u32_e32 v7, vcc, v7, v9, vcc
	v_mul_lo_u32 v8, s0, v7
	v_mul_hi_u32 v9, s0, v4
	v_mul_lo_u32 v10, s1, v4
	v_mul_lo_u32 v11, s0, v4
	v_add_u32_e32 v8, v9, v8
	v_add_u32_e32 v8, v8, v10
	v_mul_lo_u32 v12, v4, v8
	v_mul_hi_u32 v13, v4, v11
	v_mul_hi_u32 v14, v4, v8
	;; [unrolled: 1-line block ×3, first 2 shown]
	v_mul_lo_u32 v11, v7, v11
	v_mul_hi_u32 v9, v7, v8
	v_add_co_u32_e32 v12, vcc, v13, v12
	v_addc_co_u32_e32 v13, vcc, 0, v14, vcc
	v_mul_lo_u32 v8, v7, v8
	v_add_co_u32_e32 v11, vcc, v12, v11
	v_addc_co_u32_e32 v10, vcc, v13, v10, vcc
	v_addc_co_u32_e32 v9, vcc, 0, v9, vcc
	v_add_co_u32_e32 v8, vcc, v10, v8
	v_addc_co_u32_e32 v9, vcc, 0, v9, vcc
	v_add_co_u32_e32 v4, vcc, v4, v8
	v_addc_co_u32_e32 v9, vcc, v7, v9, vcc
	v_mad_u64_u32 v[7:8], s[0:1], v5, v9, 0
	v_mul_hi_u32 v10, v5, v4
	v_add_co_u32_e32 v11, vcc, v10, v7
	v_addc_co_u32_e32 v12, vcc, 0, v8, vcc
	v_mad_u64_u32 v[7:8], s[0:1], v6, v4, 0
	v_mad_u64_u32 v[9:10], s[0:1], v6, v9, 0
	v_add_co_u32_e32 v4, vcc, v11, v7
	v_addc_co_u32_e32 v4, vcc, v12, v8, vcc
	v_addc_co_u32_e32 v7, vcc, 0, v10, vcc
	v_add_co_u32_e32 v4, vcc, v4, v9
	v_addc_co_u32_e32 v9, vcc, 0, v7, vcc
	v_mul_lo_u32 v10, s21, v4
	v_mul_lo_u32 v11, s20, v9
	v_mad_u64_u32 v[7:8], s[0:1], s20, v4, 0
	v_add3_u32 v8, v8, v11, v10
	v_sub_u32_e32 v10, v6, v8
	v_mov_b32_e32 v11, s21
	v_sub_co_u32_e32 v7, vcc, v5, v7
	v_subb_co_u32_e64 v10, s[0:1], v10, v11, vcc
	v_subrev_co_u32_e64 v11, s[0:1], s20, v7
	v_subbrev_co_u32_e64 v10, s[0:1], 0, v10, s[0:1]
	v_cmp_le_u32_e64 s[0:1], s21, v10
	v_cndmask_b32_e64 v12, 0, -1, s[0:1]
	v_cmp_le_u32_e64 s[0:1], s20, v11
	v_cndmask_b32_e64 v11, 0, -1, s[0:1]
	v_cmp_eq_u32_e64 s[0:1], s21, v10
	v_cndmask_b32_e64 v10, v12, v11, s[0:1]
	v_add_co_u32_e64 v11, s[0:1], 2, v4
	v_addc_co_u32_e64 v12, s[0:1], 0, v9, s[0:1]
	v_add_co_u32_e64 v13, s[0:1], 1, v4
	v_addc_co_u32_e64 v14, s[0:1], 0, v9, s[0:1]
	v_subb_co_u32_e32 v8, vcc, v6, v8, vcc
	v_cmp_ne_u32_e64 s[0:1], 0, v10
	v_cmp_le_u32_e32 vcc, s21, v8
	v_cndmask_b32_e64 v10, v14, v12, s[0:1]
	v_cndmask_b32_e64 v12, 0, -1, vcc
	v_cmp_le_u32_e32 vcc, s20, v7
	v_cndmask_b32_e64 v7, 0, -1, vcc
	v_cmp_eq_u32_e32 vcc, s21, v8
	v_cndmask_b32_e32 v7, v12, v7, vcc
	v_cmp_ne_u32_e32 vcc, 0, v7
	v_cndmask_b32_e64 v7, v13, v11, s[0:1]
	v_cndmask_b32_e32 v8, v9, v10, vcc
	v_cndmask_b32_e32 v7, v4, v7, vcc
.LBB0_4:                                ;   in Loop: Header=BB0_2 Depth=1
	s_andn2_saveexec_b64 s[0:1], s[22:23]
	s_cbranch_execz .LBB0_6
; %bb.5:                                ;   in Loop: Header=BB0_2 Depth=1
	v_cvt_f32_u32_e32 v4, s20
	s_sub_i32 s22, 0, s20
	v_rcp_iflag_f32_e32 v4, v4
	v_mul_f32_e32 v4, 0x4f7ffffe, v4
	v_cvt_u32_f32_e32 v4, v4
	v_mul_lo_u32 v7, s22, v4
	v_mul_hi_u32 v7, v4, v7
	v_add_u32_e32 v4, v4, v7
	v_mul_hi_u32 v4, v5, v4
	v_mul_lo_u32 v7, v4, s20
	v_add_u32_e32 v8, 1, v4
	v_sub_u32_e32 v7, v5, v7
	v_subrev_u32_e32 v9, s20, v7
	v_cmp_le_u32_e32 vcc, s20, v7
	v_cndmask_b32_e32 v7, v7, v9, vcc
	v_cndmask_b32_e32 v4, v4, v8, vcc
	v_add_u32_e32 v8, 1, v4
	v_cmp_le_u32_e32 vcc, s20, v7
	v_cndmask_b32_e32 v7, v4, v8, vcc
	v_mov_b32_e32 v8, v3
.LBB0_6:                                ;   in Loop: Header=BB0_2 Depth=1
	s_or_b64 exec, exec, s[0:1]
	v_mul_lo_u32 v4, v8, s20
	v_mul_lo_u32 v11, v7, s21
	v_mad_u64_u32 v[9:10], s[0:1], v7, s20, 0
	s_load_dwordx2 s[0:1], s[6:7], 0x0
	s_add_u32 s18, s18, 1
	v_add3_u32 v4, v10, v11, v4
	v_sub_co_u32_e32 v5, vcc, v5, v9
	v_subb_co_u32_e32 v4, vcc, v6, v4, vcc
	s_waitcnt lgkmcnt(0)
	v_mul_lo_u32 v4, s0, v4
	v_mul_lo_u32 v6, s1, v5
	v_mad_u64_u32 v[1:2], s[0:1], s0, v5, v[1:2]
	s_addc_u32 s19, s19, 0
	s_add_u32 s6, s6, 8
	v_add3_u32 v2, v6, v2, v4
	v_mov_b32_e32 v4, s10
	v_mov_b32_e32 v5, s11
	s_addc_u32 s7, s7, 0
	v_cmp_ge_u64_e32 vcc, s[18:19], v[4:5]
	s_add_u32 s16, s16, 8
	s_addc_u32 s17, s17, 0
	s_cbranch_vccnz .LBB0_9
; %bb.7:                                ;   in Loop: Header=BB0_2 Depth=1
	v_mov_b32_e32 v5, v7
	v_mov_b32_e32 v6, v8
	s_branch .LBB0_2
.LBB0_8:
	v_mov_b32_e32 v8, v6
	v_mov_b32_e32 v7, v5
.LBB0_9:
	s_lshl_b64 s[0:1], s[10:11], 3
	s_add_u32 s0, s2, s0
	s_addc_u32 s1, s3, s1
	s_load_dwordx2 s[2:3], s[0:1], 0x0
	s_load_dwordx2 s[6:7], s[4:5], 0x20
                                        ; implicit-def: $vgpr16_vgpr17
                                        ; implicit-def: $vgpr12_vgpr13
                                        ; implicit-def: $vgpr24_vgpr25
                                        ; implicit-def: $vgpr28_vgpr29
                                        ; implicit-def: $vgpr32_vgpr33
                                        ; implicit-def: $vgpr36_vgpr37
                                        ; implicit-def: $vgpr40_vgpr41
                                        ; implicit-def: $vgpr44_vgpr45
                                        ; implicit-def: $vgpr48_vgpr49
                                        ; implicit-def: $vgpr52_vgpr53
                                        ; implicit-def: $vgpr56_vgpr57
                                        ; implicit-def: $vgpr60_vgpr61
                                        ; implicit-def: $vgpr64_vgpr65
                                        ; implicit-def: $vgpr68_vgpr69
                                        ; implicit-def: $vgpr72_vgpr73
                                        ; implicit-def: $vgpr20_vgpr21
	s_waitcnt lgkmcnt(0)
	v_mad_u64_u32 v[1:2], s[0:1], s2, v7, v[1:2]
	s_mov_b32 s0, 0x1ac5702
	v_mul_lo_u32 v3, s2, v8
	v_mul_lo_u32 v4, s3, v7
	v_mul_hi_u32 v5, v0, s0
	v_cmp_gt_u64_e32 vcc, s[6:7], v[7:8]
	s_movk_i32 s0, 0x75
	v_add3_u32 v2, v4, v2, v3
	v_mul_u32_u24_e32 v3, 0x99, v5
	v_sub_u32_e32 v174, v0, v3
	v_cmp_gt_u32_e64 s[0:1], s0, v174
	v_lshlrev_b64 v[98:99], 4, v[1:2]
	s_and_b64 s[2:3], vcc, s[0:1]
                                        ; implicit-def: $vgpr8_vgpr9
	s_and_saveexec_b64 s[4:5], s[2:3]
	s_cbranch_execz .LBB0_11
; %bb.10:
	v_mad_u64_u32 v[0:1], s[2:3], s12, v174, 0
	v_add_u32_e32 v5, 0x75, v174
	v_mov_b32_e32 v4, s15
	v_mad_u64_u32 v[1:2], s[2:3], s13, v174, v[1:2]
	v_mad_u64_u32 v[2:3], s[2:3], s12, v5, 0
	v_add_co_u32_e64 v20, s[2:3], s14, v98
	v_addc_co_u32_e64 v21, s[2:3], v4, v99, s[2:3]
	v_mad_u64_u32 v[3:4], s[2:3], s13, v5, v[3:4]
	v_add_u32_e32 v6, 0xea, v174
	v_mad_u64_u32 v[4:5], s[2:3], s12, v6, 0
	v_lshlrev_b64 v[0:1], 4, v[0:1]
	v_add_u32_e32 v8, 0x15f, v174
	v_add_co_u32_e64 v0, s[2:3], v20, v0
	v_addc_co_u32_e64 v1, s[2:3], v21, v1, s[2:3]
	v_mad_u64_u32 v[5:6], s[2:3], s13, v6, v[5:6]
	v_mad_u64_u32 v[6:7], s[2:3], s12, v8, 0
	v_lshlrev_b64 v[2:3], 4, v[2:3]
	v_add_u32_e32 v10, 0x1d4, v174
	v_add_co_u32_e64 v2, s[2:3], v20, v2
	v_addc_co_u32_e64 v3, s[2:3], v21, v3, s[2:3]
	v_mad_u64_u32 v[7:8], s[2:3], s13, v8, v[7:8]
	;; [unrolled: 6-line block ×5, first 2 shown]
	v_mad_u64_u32 v[14:15], s[2:3], s12, v18, 0
	v_lshlrev_b64 v[10:11], 4, v[10:11]
	v_add_co_u32_e64 v16, s[2:3], v20, v10
	v_addc_co_u32_e64 v17, s[2:3], v21, v11, s[2:3]
	v_lshlrev_b64 v[10:11], 4, v[12:13]
	v_mov_b32_e32 v12, v15
	v_mad_u64_u32 v[12:13], s[2:3], s13, v18, v[12:13]
	v_add_u32_e32 v13, 0x3a8, v174
	v_mad_u64_u32 v[18:19], s[2:3], s12, v13, 0
	v_add_co_u32_e64 v74, s[2:3], v20, v10
	v_mov_b32_e32 v15, v12
	v_mov_b32_e32 v12, v19
	v_addc_co_u32_e64 v75, s[2:3], v21, v11, s[2:3]
	v_lshlrev_b64 v[10:11], 4, v[14:15]
	v_mad_u64_u32 v[12:13], s[2:3], s13, v13, v[12:13]
	v_add_u32_e32 v15, 0x41d, v174
	v_mad_u64_u32 v[13:14], s[2:3], s12, v15, 0
	v_add_co_u32_e64 v76, s[2:3], v20, v10
	v_mov_b32_e32 v19, v12
	v_mov_b32_e32 v12, v14
	v_addc_co_u32_e64 v77, s[2:3], v21, v11, s[2:3]
	v_mad_u64_u32 v[14:15], s[2:3], s13, v15, v[12:13]
	v_add_u32_e32 v15, 0x492, v174
	v_lshlrev_b64 v[10:11], 4, v[18:19]
	v_mad_u64_u32 v[18:19], s[2:3], s12, v15, 0
	v_add_co_u32_e64 v78, s[2:3], v20, v10
	v_mov_b32_e32 v12, v19
	v_addc_co_u32_e64 v79, s[2:3], v21, v11, s[2:3]
	v_lshlrev_b64 v[10:11], 4, v[13:14]
	v_mad_u64_u32 v[12:13], s[2:3], s13, v15, v[12:13]
	v_add_u32_e32 v15, 0x507, v174
	v_mad_u64_u32 v[13:14], s[2:3], s12, v15, 0
	v_add_co_u32_e64 v80, s[2:3], v20, v10
	v_mov_b32_e32 v19, v12
	v_mov_b32_e32 v12, v14
	v_addc_co_u32_e64 v81, s[2:3], v21, v11, s[2:3]
	v_mad_u64_u32 v[14:15], s[2:3], s13, v15, v[12:13]
	v_add_u32_e32 v15, 0x57c, v174
	v_lshlrev_b64 v[10:11], 4, v[18:19]
	v_mad_u64_u32 v[18:19], s[2:3], s12, v15, 0
	v_add_co_u32_e64 v82, s[2:3], v20, v10
	v_mov_b32_e32 v12, v19
	v_addc_co_u32_e64 v83, s[2:3], v21, v11, s[2:3]
	v_lshlrev_b64 v[10:11], 4, v[13:14]
	v_mad_u64_u32 v[12:13], s[2:3], s13, v15, v[12:13]
	v_add_u32_e32 v15, 0x5f1, v174
	v_mad_u64_u32 v[13:14], s[2:3], s12, v15, 0
	v_add_co_u32_e64 v84, s[2:3], v20, v10
	v_mov_b32_e32 v19, v12
	v_mov_b32_e32 v12, v14
	v_addc_co_u32_e64 v85, s[2:3], v21, v11, s[2:3]
	v_mad_u64_u32 v[14:15], s[2:3], s13, v15, v[12:13]
	v_add_u32_e32 v15, 0x666, v174
	v_lshlrev_b64 v[10:11], 4, v[18:19]
	v_mad_u64_u32 v[18:19], s[2:3], s12, v15, 0
	v_add_co_u32_e64 v86, s[2:3], v20, v10
	v_mov_b32_e32 v12, v19
	v_addc_co_u32_e64 v87, s[2:3], v21, v11, s[2:3]
	v_lshlrev_b64 v[10:11], 4, v[13:14]
	v_mad_u64_u32 v[12:13], s[2:3], s13, v15, v[12:13]
	v_add_u32_e32 v15, 0x6db, v174
	v_mad_u64_u32 v[13:14], s[2:3], s12, v15, 0
	v_add_co_u32_e64 v88, s[2:3], v20, v10
	v_mov_b32_e32 v19, v12
	v_mov_b32_e32 v12, v14
	v_addc_co_u32_e64 v89, s[2:3], v21, v11, s[2:3]
	v_mad_u64_u32 v[14:15], s[2:3], s13, v15, v[12:13]
	v_add_u32_e32 v15, 0x750, v174
	v_lshlrev_b64 v[10:11], 4, v[18:19]
	v_mad_u64_u32 v[18:19], s[2:3], s12, v15, 0
	v_add_co_u32_e64 v90, s[2:3], v20, v10
	v_mov_b32_e32 v12, v19
	v_addc_co_u32_e64 v91, s[2:3], v21, v11, s[2:3]
	v_lshlrev_b64 v[10:11], 4, v[13:14]
	v_mad_u64_u32 v[12:13], s[2:3], s13, v15, v[12:13]
	v_add_co_u32_e64 v92, s[2:3], v20, v10
	v_mov_b32_e32 v19, v12
	v_addc_co_u32_e64 v93, s[2:3], v21, v11, s[2:3]
	v_lshlrev_b64 v[10:11], 4, v[18:19]
	v_add_co_u32_e64 v94, s[2:3], v20, v10
	v_addc_co_u32_e64 v95, s[2:3], v21, v11, s[2:3]
	global_load_dwordx4 v[18:21], v[0:1], off
	global_load_dwordx4 v[70:73], v[2:3], off
	;; [unrolled: 1-line block ×15, first 2 shown]
                                        ; kill: killed $vgpr86 killed $vgpr87
                                        ; kill: killed $vgpr8 killed $vgpr9
                                        ; kill: killed $vgpr88 killed $vgpr89
                                        ; kill: killed $vgpr16 killed $vgpr17
                                        ; kill: killed $vgpr90 killed $vgpr91
                                        ; kill: killed $vgpr74 killed $vgpr75
                                        ; kill: killed $vgpr76 killed $vgpr77
                                        ; kill: killed $vgpr78 killed $vgpr79
                                        ; kill: killed $vgpr0 killed $vgpr1
                                        ; kill: killed $vgpr80 killed $vgpr81
                                        ; kill: killed $vgpr2 killed $vgpr3
                                        ; kill: killed $vgpr82 killed $vgpr83
                                        ; kill: killed $vgpr4 killed $vgpr5
                                        ; kill: killed $vgpr84 killed $vgpr85
                                        ; kill: killed $vgpr6 killed $vgpr7
	global_load_dwordx4 v[14:17], v[92:93], off
	global_load_dwordx4 v[6:9], v[94:95], off
.LBB0_11:
	s_or_b64 exec, exec, s[4:5]
	s_waitcnt vmcnt(0)
	v_add_f64 v[94:95], v[6:7], v[70:71]
	s_mov_b32 s2, 0x370991
	s_mov_b32 s3, 0x3fedd6d0
	v_add_f64 v[112:113], v[72:73], -v[8:9]
	v_add_f64 v[116:117], v[14:15], v[66:67]
	s_mov_b32 s20, 0x5d8e7cdc
	s_mov_b32 s4, 0x75d4884
	;; [unrolled: 1-line block ×3, first 2 shown]
	v_mul_f64 v[4:5], v[94:95], s[2:3]
	s_mov_b32 s21, 0xbfd71e95
	s_mov_b32 s5, 0x3fe7a5f6
	;; [unrolled: 1-line block ×3, first 2 shown]
	v_add_f64 v[132:133], v[68:69], -v[16:17]
	v_mul_f64 v[74:75], v[94:95], s[4:5]
	v_mul_f64 v[80:81], v[94:95], s[6:7]
	;; [unrolled: 1-line block ×3, first 2 shown]
	v_fma_f64 v[0:1], v[112:113], s[20:21], v[4:5]
	s_mov_b32 s36, 0x2a9d6da3
	s_mov_b32 s10, 0x3259b75e
	;; [unrolled: 1-line block ×8, first 2 shown]
	v_fma_f64 v[2:3], v[112:113], s[36:37], v[74:75]
	v_mul_f64 v[78:79], v[116:117], s[10:11]
	v_fma_f64 v[84:85], v[112:113], s[30:31], v[80:81]
	v_add_f64 v[0:1], v[18:19], v[0:1]
	v_fma_f64 v[88:89], v[132:133], s[36:37], v[76:77]
	v_mul_f64 v[82:83], v[94:95], s[10:11]
	v_add_f64 v[110:111], v[10:11], v[62:63]
	v_mul_f64 v[86:87], v[116:117], s[16:17]
	s_mov_b32 s24, 0xeb564b22
	s_mov_b32 s18, 0x7faef3
	;; [unrolled: 1-line block ×6, first 2 shown]
	v_add_f64 v[2:3], v[18:19], v[2:3]
	v_fma_f64 v[92:93], v[132:133], s[24:25], v[78:79]
	v_add_f64 v[96:97], v[18:19], v[84:85]
	v_fma_f64 v[100:101], v[112:113], s[24:25], v[82:83]
	v_mul_f64 v[90:91], v[116:117], s[18:19]
	v_add_f64 v[152:153], v[64:65], -v[12:13]
	v_mul_f64 v[84:85], v[110:111], s[6:7]
	v_fma_f64 v[102:103], v[132:133], s[34:35], v[86:87]
	v_add_f64 v[0:1], v[88:89], v[0:1]
	v_mul_f64 v[88:89], v[110:111], s[16:17]
	v_add_f64 v[124:125], v[22:23], v[58:59]
	s_mov_b32 s28, 0xacd6c6b4
	s_mov_b32 s22, 0xc61f0d01
	;; [unrolled: 1-line block ×4, first 2 shown]
	v_add_f64 v[100:101], v[18:19], v[100:101]
	v_fma_f64 v[104:105], v[132:133], s[28:29], v[90:91]
	v_fma_f64 v[114:115], v[152:153], s[30:31], v[84:85]
	v_add_f64 v[2:3], v[92:93], v[2:3]
	v_add_f64 v[102:103], v[102:103], v[96:97]
	v_mul_f64 v[92:93], v[110:111], s[18:19]
	v_mul_f64 v[106:107], v[110:111], s[22:23]
	v_fma_f64 v[118:119], v[152:153], s[34:35], v[88:89]
	v_add_f64 v[134:135], v[60:61], -v[24:25]
	v_mul_f64 v[96:97], v[124:125], s[10:11]
	s_mov_b32 s40, 0x923c349f
	s_mov_b32 s47, 0x3fc7851a
	;; [unrolled: 1-line block ×4, first 2 shown]
	v_add_f64 v[100:101], v[104:105], v[100:101]
	v_fma_f64 v[120:121], v[152:153], s[46:47], v[92:93]
	v_fma_f64 v[122:123], v[152:153], s[40:41], v[106:107]
	v_mul_f64 v[104:105], v[124:125], s[18:19]
	v_mul_f64 v[108:109], v[124:125], s[22:23]
	v_add_f64 v[0:1], v[114:115], v[0:1]
	v_add_f64 v[2:3], v[118:119], v[2:3]
	v_mul_f64 v[118:119], v[124:125], s[2:3]
	v_fma_f64 v[114:115], v[134:135], s[24:25], v[96:97]
	v_add_f64 v[138:139], v[26:27], v[54:55]
	s_mov_b32 s39, 0x3fd71e95
	s_mov_b32 s38, s20
	v_add_f64 v[102:103], v[120:121], v[102:103]
	v_add_f64 v[100:101], v[122:123], v[100:101]
	v_fma_f64 v[120:121], v[134:135], s[28:29], v[104:105]
	v_fma_f64 v[122:123], v[134:135], s[40:41], v[108:109]
	v_fma_f64 v[126:127], v[134:135], s[38:39], v[118:119]
	v_add_f64 v[0:1], v[114:115], v[0:1]
	v_add_f64 v[148:149], v[56:57], -v[28:29]
	v_mul_f64 v[114:115], v[138:139], s[22:23]
	s_mov_b32 s26, 0x910ea3b9
	s_mov_b32 s49, 0xbfeec746
	;; [unrolled: 1-line block ×4, first 2 shown]
	v_add_f64 v[2:3], v[120:121], v[2:3]
	v_add_f64 v[102:103], v[122:123], v[102:103]
	;; [unrolled: 1-line block ×3, first 2 shown]
	v_mul_f64 v[120:121], v[138:139], s[26:27]
	v_fma_f64 v[126:127], v[148:149], s[48:49], v[114:115]
	v_mul_f64 v[122:123], v[138:139], s[4:5]
	v_mul_f64 v[142:143], v[138:139], s[6:7]
	v_add_f64 v[154:155], v[30:31], v[50:51]
	s_mov_b32 s50, 0x4363dd80
	s_mov_b32 s51, 0x3fe0d888
	;; [unrolled: 1-line block ×4, first 2 shown]
	v_fma_f64 v[136:137], v[148:149], s[50:51], v[120:121]
	v_fma_f64 v[140:141], v[148:149], s[42:43], v[122:123]
	v_add_f64 v[0:1], v[126:127], v[0:1]
	v_fma_f64 v[144:145], v[148:149], s[30:31], v[142:143]
	v_add_f64 v[164:165], v[52:53], -v[32:33]
	v_mul_f64 v[126:127], v[154:155], s[16:17]
	v_mul_f64 v[128:129], v[154:155], s[22:23]
	;; [unrolled: 1-line block ×3, first 2 shown]
	v_add_f64 v[2:3], v[136:137], v[2:3]
	v_add_f64 v[102:103], v[140:141], v[102:103]
	v_mul_f64 v[160:161], v[154:155], s[26:27]
	v_add_f64 v[100:101], v[144:145], v[100:101]
	v_add_f64 v[162:163], v[34:35], v[46:47]
	v_fma_f64 v[140:141], v[164:165], s[34:35], v[126:127]
	v_fma_f64 v[144:145], v[164:165], s[40:41], v[128:129]
	;; [unrolled: 1-line block ×3, first 2 shown]
	s_mov_b32 s45, 0xbfe0d888
	s_mov_b32 s44, s50
	v_fma_f64 v[150:151], v[164:165], s[44:45], v[160:161]
	v_add_f64 v[166:167], v[48:49], -v[36:37]
	v_mul_f64 v[136:137], v[162:163], s[26:27]
	v_add_f64 v[0:1], v[140:141], v[0:1]
	v_add_f64 v[2:3], v[144:145], v[2:3]
	;; [unrolled: 1-line block ×3, first 2 shown]
	v_mul_f64 v[140:141], v[162:163], s[6:7]
	v_mul_f64 v[146:147], v[162:163], s[10:11]
	;; [unrolled: 1-line block ×3, first 2 shown]
	v_add_f64 v[144:145], v[38:39], v[42:43]
	s_mov_b32 s53, 0x3feca52d
	s_mov_b32 s52, s30
	;; [unrolled: 1-line block ×4, first 2 shown]
	v_add_f64 v[100:101], v[150:151], v[100:101]
	v_fma_f64 v[175:176], v[166:167], s[44:45], v[136:137]
	v_fma_f64 v[177:178], v[166:167], s[52:53], v[140:141]
	;; [unrolled: 1-line block ×4, first 2 shown]
	v_add_f64 v[172:173], v[44:45], -v[40:41]
	v_mul_f64 v[150:151], v[144:145], s[2:3]
	v_mul_f64 v[156:157], v[144:145], s[26:27]
	;; [unrolled: 1-line block ×4, first 2 shown]
	v_add_f64 v[175:176], v[175:176], v[0:1]
	v_add_f64 v[0:1], v[177:178], v[2:3]
	;; [unrolled: 1-line block ×4, first 2 shown]
	v_fma_f64 v[100:101], v[172:173], s[38:39], v[150:151]
	v_fma_f64 v[177:178], v[172:173], s[44:45], v[156:157]
	;; [unrolled: 1-line block ×4, first 2 shown]
	v_add_f64 v[100:101], v[100:101], v[0:1]
	v_add_f64 v[0:1], v[177:178], v[2:3]
	;; [unrolled: 1-line block ×4, first 2 shown]
	s_and_saveexec_b64 s[56:57], s[0:1]
	s_cbranch_execz .LBB0_13
; %bb.12:
	v_mul_f64 v[193:194], v[112:113], s[28:29]
	v_mul_f64 v[207:208], v[132:133], s[38:39]
	v_mul_f64 v[219:220], v[152:153], s[44:45]
	v_mul_f64 v[229:230], v[134:135], s[42:43]
	v_mul_f64 v[233:234], v[148:149], s[34:35]
	v_mul_f64 v[239:240], v[112:113], s[44:45]
	v_mul_f64 v[243:244], v[132:133], s[52:53]
	s_mov_b32 s59, 0x3fefdd0d
	v_fma_f64 v[209:210], v[94:95], s[18:19], v[193:194]
	v_fma_f64 v[193:194], v[94:95], s[18:19], -v[193:194]
	v_fma_f64 v[221:222], v[116:117], s[2:3], v[207:208]
	v_fma_f64 v[207:208], v[116:117], s[2:3], -v[207:208]
	;; [unrolled: 2-line block ×4, first 2 shown]
	v_add_f64 v[209:210], v[18:19], v[209:210]
	v_add_f64 v[193:194], v[18:19], v[193:194]
	v_fma_f64 v[237:238], v[138:139], s[16:17], v[233:234]
	v_fma_f64 v[233:234], v[138:139], s[16:17], -v[233:234]
	v_fma_f64 v[245:246], v[94:95], s[26:27], v[239:240]
	s_mov_b32 s58, s24
	v_fma_f64 v[247:248], v[116:117], s[6:7], v[243:244]
	v_mul_f64 v[249:250], v[152:153], s[20:21]
	v_add_f64 v[209:210], v[221:222], v[209:210]
	v_add_f64 v[193:194], v[207:208], v[193:194]
	v_mul_f64 v[175:176], v[112:113], s[20:21]
	v_mul_f64 v[177:178], v[112:113], s[36:37]
	v_add_f64 v[245:246], v[18:19], v[245:246]
	v_mul_f64 v[179:180], v[112:113], s[30:31]
	v_mul_f64 v[181:182], v[112:113], s[24:25]
	v_mul_f64 v[183:184], v[132:133], s[36:37]
	v_add_f64 v[209:210], v[231:232], v[209:210]
	v_add_f64 v[193:194], v[219:220], v[193:194]
	v_mul_f64 v[231:232], v[164:165], s[52:53]
	v_mul_f64 v[219:220], v[172:173], s[58:59]
	v_add_f64 v[245:246], v[247:248], v[245:246]
	v_mul_f64 v[185:186], v[132:133], s[24:25]
	v_mul_f64 v[187:188], v[132:133], s[34:35]
	;; [unrolled: 1-line block ×3, first 2 shown]
	v_add_f64 v[209:210], v[235:236], v[209:210]
	v_add_f64 v[193:194], v[229:230], v[193:194]
	v_mul_f64 v[229:230], v[166:167], s[48:49]
	v_fma_f64 v[241:242], v[154:155], s[6:7], v[231:232]
	v_fma_f64 v[231:232], v[154:155], s[6:7], -v[231:232]
	v_fma_f64 v[235:236], v[144:145], s[10:11], v[219:220]
	v_fma_f64 v[219:220], v[144:145], s[10:11], -v[219:220]
	v_mul_f64 v[191:192], v[152:153], s[30:31]
	v_add_f64 v[209:210], v[237:238], v[209:210]
	v_add_f64 v[193:194], v[233:234], v[193:194]
	v_fma_f64 v[233:234], v[162:163], s[22:23], v[229:230]
	v_fma_f64 v[237:238], v[94:95], s[26:27], -v[239:240]
	v_mul_f64 v[239:240], v[152:153], s[24:25]
	v_fma_f64 v[229:230], v[162:163], s[22:23], -v[229:230]
	v_mul_f64 v[195:196], v[152:153], s[34:35]
	v_mul_f64 v[197:198], v[152:153], s[46:47]
	v_add_f64 v[209:210], v[241:242], v[209:210]
	v_add_f64 v[193:194], v[231:232], v[193:194]
	v_fma_f64 v[231:232], v[116:117], s[6:7], -v[243:244]
	v_add_f64 v[237:238], v[18:19], v[237:238]
	v_mul_f64 v[241:242], v[134:135], s[54:55]
	v_fma_f64 v[243:244], v[110:111], s[10:11], v[239:240]
	v_mul_f64 v[199:200], v[152:153], s[40:41]
	v_add_f64 v[4:5], v[4:5], -v[175:176]
	v_add_f64 v[209:210], v[233:234], v[209:210]
	v_add_f64 v[193:194], v[229:230], v[193:194]
	v_fma_f64 v[229:230], v[110:111], s[10:11], -v[239:240]
	v_add_f64 v[231:232], v[231:232], v[237:238]
	v_mul_f64 v[233:234], v[148:149], s[20:21]
	v_fma_f64 v[237:238], v[124:125], s[16:17], v[241:242]
	v_add_f64 v[239:240], v[243:244], v[245:246]
	v_add_f64 v[80:81], v[80:81], -v[179:180]
	v_add_f64 v[209:210], v[235:236], v[209:210]
	v_mul_f64 v[235:236], v[112:113], s[34:35]
	v_add_f64 v[193:194], v[219:220], v[193:194]
	v_fma_f64 v[219:220], v[124:125], s[16:17], -v[241:242]
	v_add_f64 v[229:230], v[229:230], v[231:232]
	v_mul_f64 v[231:232], v[164:165], s[28:29]
	v_fma_f64 v[241:242], v[138:139], s[2:3], v[233:234]
	v_add_f64 v[237:238], v[237:238], v[239:240]
	v_mul_f64 v[239:240], v[132:133], s[40:41]
	v_fma_f64 v[243:244], v[94:95], s[16:17], v[235:236]
	v_fma_f64 v[233:234], v[138:139], s[2:3], -v[233:234]
	v_fma_f64 v[235:236], v[94:95], s[16:17], -v[235:236]
	v_add_f64 v[219:220], v[219:220], v[229:230]
	v_mul_f64 v[229:230], v[166:167], s[42:43]
	v_fma_f64 v[247:248], v[154:155], s[18:19], v[231:232]
	v_add_f64 v[237:238], v[241:242], v[237:238]
	v_fma_f64 v[241:242], v[116:117], s[22:23], v[239:240]
	v_add_f64 v[243:244], v[18:19], v[243:244]
	v_fma_f64 v[231:232], v[154:155], s[18:19], -v[231:232]
	v_add_f64 v[235:236], v[18:19], v[235:236]
	v_add_f64 v[219:220], v[233:234], v[219:220]
	v_fma_f64 v[233:234], v[162:163], s[4:5], v[229:230]
	v_mul_f64 v[112:113], v[112:113], s[48:49]
	v_add_f64 v[237:238], v[247:248], v[237:238]
	v_mul_f64 v[247:248], v[134:135], s[44:45]
	v_add_f64 v[241:242], v[241:242], v[243:244]
	v_fma_f64 v[243:244], v[110:111], s[2:3], v[249:250]
	v_fma_f64 v[249:250], v[110:111], s[2:3], -v[249:250]
	v_add_f64 v[219:220], v[231:232], v[219:220]
	v_fma_f64 v[231:232], v[116:117], s[22:23], -v[239:240]
	v_mul_f64 v[132:133], v[132:133], s[50:51]
	v_add_f64 v[233:234], v[233:234], v[237:238]
	v_fma_f64 v[237:238], v[124:125], s[26:27], v[247:248]
	v_fma_f64 v[247:248], v[124:125], s[26:27], -v[247:248]
	v_add_f64 v[241:242], v[243:244], v[241:242]
	v_mul_f64 v[243:244], v[148:149], s[58:59]
	v_add_f64 v[74:75], v[74:75], -v[177:178]
	v_add_f64 v[231:232], v[231:232], v[235:236]
	v_add_f64 v[82:83], v[82:83], -v[181:182]
	v_add_f64 v[76:77], v[76:77], -v[183:184]
	v_add_f64 v[4:5], v[18:19], v[4:5]
	v_add_f64 v[86:87], v[86:87], -v[187:188]
	v_add_f64 v[237:238], v[237:238], v[241:242]
	v_fma_f64 v[241:242], v[138:139], s[10:11], v[243:244]
	v_fma_f64 v[243:244], v[138:139], s[10:11], -v[243:244]
	v_add_f64 v[231:232], v[249:250], v[231:232]
	v_add_f64 v[80:81], v[18:19], v[80:81]
	v_add_f64 v[78:79], v[78:79], -v[185:186]
	v_add_f64 v[74:75], v[18:19], v[74:75]
	v_mul_f64 v[201:202], v[134:135], s[24:25]
	v_mul_f64 v[203:204], v[134:135], s[28:29]
	v_add_f64 v[237:238], v[241:242], v[237:238]
	v_fma_f64 v[241:242], v[94:95], s[22:23], -v[112:113]
	v_fma_f64 v[94:95], v[94:95], s[22:23], v[112:113]
	v_add_f64 v[231:232], v[247:248], v[231:232]
	v_mul_f64 v[112:113], v[152:153], s[42:43]
	v_fma_f64 v[152:153], v[116:117], s[26:27], -v[132:133]
	v_fma_f64 v[116:117], v[116:117], s[26:27], v[132:133]
	v_add_f64 v[132:133], v[70:71], v[18:19]
	v_mul_f64 v[205:206], v[134:135], s[40:41]
	v_add_f64 v[241:242], v[18:19], v[241:242]
	v_add_f64 v[94:95], v[18:19], v[94:95]
	;; [unrolled: 1-line block ×3, first 2 shown]
	v_fma_f64 v[243:244], v[110:111], s[4:5], -v[112:113]
	v_fma_f64 v[110:111], v[110:111], s[4:5], v[112:113]
	v_mul_f64 v[211:212], v[134:135], s[38:39]
	v_mul_f64 v[245:246], v[172:173], s[48:49]
	;; [unrolled: 1-line block ×3, first 2 shown]
	v_add_f64 v[152:153], v[152:153], v[241:242]
	v_add_f64 v[94:95], v[116:117], v[94:95]
	;; [unrolled: 1-line block ×3, first 2 shown]
	v_add_f64 v[90:91], v[90:91], -v[189:190]
	v_add_f64 v[18:19], v[18:19], v[82:83]
	v_add_f64 v[84:85], v[84:85], -v[191:192]
	v_add_f64 v[4:5], v[76:77], v[4:5]
	;; [unrolled: 2-line block ×3, first 2 shown]
	v_add_f64 v[94:95], v[110:111], v[94:95]
	v_add_f64 v[110:111], v[62:63], v[116:117]
	v_add_f64 v[86:87], v[88:89], -v[195:196]
	v_add_f64 v[74:75], v[78:79], v[74:75]
	v_mul_f64 v[213:214], v[148:149], s[48:49]
	v_mul_f64 v[215:216], v[148:149], s[50:51]
	;; [unrolled: 1-line block ×4, first 2 shown]
	v_fma_f64 v[239:240], v[144:145], s[22:23], v[245:246]
	v_add_f64 v[110:111], v[58:59], v[110:111]
	v_add_f64 v[152:153], v[243:244], v[152:153]
	v_fma_f64 v[243:244], v[124:125], s[6:7], -v[134:135]
	v_mul_f64 v[148:149], v[148:149], s[28:29]
	v_add_f64 v[106:107], v[106:107], -v[199:200]
	v_add_f64 v[18:19], v[90:91], v[18:19]
	v_fma_f64 v[229:230], v[162:163], s[4:5], -v[229:230]
	v_add_f64 v[88:89], v[96:97], -v[201:202]
	v_add_f64 v[110:111], v[54:55], v[110:111]
	v_add_f64 v[4:5], v[84:85], v[4:5]
	v_add_f64 v[78:79], v[108:109], -v[205:206]
	v_add_f64 v[80:81], v[82:83], v[80:81]
	v_add_f64 v[82:83], v[104:105], -v[203:204]
	v_add_f64 v[74:75], v[86:87], v[74:75]
	v_mul_f64 v[225:226], v[164:165], s[34:35]
	v_mul_f64 v[227:228], v[164:165], s[40:41]
	v_add_f64 v[110:111], v[50:51], v[110:111]
	v_mul_f64 v[207:208], v[164:165], s[20:21]
	v_mul_f64 v[221:222], v[164:165], s[44:45]
	v_add_f64 v[233:234], v[239:240], v[233:234]
	v_mul_f64 v[239:240], v[164:165], s[36:37]
	v_fma_f64 v[124:125], v[124:125], s[6:7], v[134:135]
	v_mul_f64 v[164:165], v[164:165], s[58:59]
	v_add_f64 v[152:153], v[243:244], v[152:153]
	v_add_f64 v[110:111], v[46:47], v[110:111]
	v_fma_f64 v[243:244], v[138:139], s[18:19], -v[148:149]
	v_add_f64 v[118:119], v[118:119], -v[211:212]
	v_add_f64 v[18:19], v[106:107], v[18:19]
	v_add_f64 v[219:220], v[229:230], v[219:220]
	v_fma_f64 v[245:246], v[144:145], s[22:23], -v[245:246]
	v_add_f64 v[86:87], v[114:115], -v[213:214]
	v_add_f64 v[4:5], v[88:89], v[4:5]
	v_add_f64 v[110:111], v[42:43], v[110:111]
	v_add_f64 v[84:85], v[122:123], -v[217:218]
	v_add_f64 v[78:79], v[78:79], v[80:81]
	v_add_f64 v[80:81], v[120:121], -v[215:216]
	v_add_f64 v[74:75], v[82:83], v[74:75]
	v_mul_f64 v[229:230], v[166:167], s[44:45]
	v_mul_f64 v[235:236], v[166:167], s[52:53]
	;; [unrolled: 1-line block ×3, first 2 shown]
	v_add_f64 v[110:111], v[38:39], v[110:111]
	v_mul_f64 v[247:248], v[166:167], s[54:55]
	v_mul_f64 v[116:117], v[166:167], s[28:29]
	v_fma_f64 v[138:139], v[138:139], s[18:19], v[148:149]
	v_add_f64 v[94:95], v[124:125], v[94:95]
	v_mul_f64 v[166:167], v[166:167], s[20:21]
	v_add_f64 v[152:153], v[243:244], v[152:153]
	v_fma_f64 v[243:244], v[154:155], s[10:11], -v[164:165]
	v_add_f64 v[76:77], v[34:35], v[110:111]
	v_add_f64 v[142:143], v[142:143], -v[223:224]
	v_add_f64 v[18:19], v[118:119], v[18:19]
	v_add_f64 v[219:220], v[245:246], v[219:220]
	v_fma_f64 v[245:246], v[154:155], s[4:5], v[239:240]
	v_add_f64 v[88:89], v[126:127], -v[225:226]
	v_add_f64 v[4:5], v[86:87], v[4:5]
	v_add_f64 v[82:83], v[130:131], -v[207:208]
	v_add_f64 v[76:77], v[30:31], v[76:77]
	v_add_f64 v[78:79], v[84:85], v[78:79]
	v_add_f64 v[84:85], v[128:129], -v[227:228]
	v_add_f64 v[74:75], v[80:81], v[74:75]
	v_add_f64 v[94:95], v[138:139], v[94:95]
	v_fma_f64 v[138:139], v[162:163], s[2:3], -v[166:167]
	v_add_f64 v[152:153], v[243:244], v[152:153]
	v_add_f64 v[160:161], v[160:161], -v[221:222]
	v_add_f64 v[76:77], v[26:27], v[76:77]
	v_add_f64 v[18:19], v[142:143], v[18:19]
	v_fma_f64 v[239:240], v[154:155], s[4:5], -v[239:240]
	v_fma_f64 v[154:155], v[154:155], s[10:11], v[164:165]
	v_add_f64 v[237:238], v[245:246], v[237:238]
	v_mul_f64 v[245:246], v[172:173], s[28:29]
	v_add_f64 v[86:87], v[136:137], -v[229:230]
	v_add_f64 v[4:5], v[88:89], v[4:5]
	v_add_f64 v[76:77], v[22:23], v[76:77]
	v_mul_f64 v[241:242], v[172:173], s[38:39]
	v_mul_f64 v[112:113], v[172:173], s[44:45]
	v_add_f64 v[80:81], v[146:147], -v[249:250]
	v_add_f64 v[78:79], v[82:83], v[78:79]
	v_add_f64 v[82:83], v[140:141], -v[235:236]
	v_add_f64 v[74:75], v[84:85], v[74:75]
	v_mul_f64 v[132:133], v[172:173], s[42:43]
	v_add_f64 v[76:77], v[10:11], v[76:77]
	v_mul_f64 v[134:135], v[172:173], s[52:53]
	v_mul_f64 v[172:173], v[172:173], s[34:35]
	v_add_f64 v[138:139], v[138:139], v[152:153]
	v_add_f64 v[152:153], v[168:169], -v[247:248]
	v_add_f64 v[18:19], v[160:161], v[18:19]
	v_fma_f64 v[124:125], v[162:163], s[18:19], v[116:117]
	v_fma_f64 v[116:117], v[162:163], s[18:19], -v[116:117]
	v_add_f64 v[231:232], v[239:240], v[231:232]
	v_fma_f64 v[162:163], v[162:163], s[2:3], v[166:167]
	v_add_f64 v[94:95], v[154:155], v[94:95]
	v_add_f64 v[88:89], v[158:159], -v[245:246]
	v_add_f64 v[4:5], v[86:87], v[4:5]
	v_add_f64 v[76:77], v[14:15], v[76:77]
	v_add_f64 v[84:85], v[156:157], -v[112:113]
	v_add_f64 v[78:79], v[80:81], v[78:79]
	v_add_f64 v[80:81], v[150:151], -v[241:242]
	v_add_f64 v[74:75], v[82:83], v[74:75]
	v_fma_f64 v[154:155], v[144:145], s[16:17], -v[172:173]
	v_add_f64 v[132:133], v[170:171], -v[132:133]
	v_add_f64 v[18:19], v[152:153], v[18:19]
	v_fma_f64 v[148:149], v[144:145], s[6:7], v[134:135]
	v_fma_f64 v[134:135], v[144:145], s[6:7], -v[134:135]
	v_add_f64 v[116:117], v[116:117], v[231:232]
	v_add_f64 v[124:125], v[124:125], v[237:238]
	v_fma_f64 v[82:83], v[144:145], s[16:17], v[172:173]
	v_add_f64 v[86:87], v[162:163], v[94:95]
	v_add_f64 v[4:5], v[88:89], v[4:5]
	;; [unrolled: 1-line block ×10, first 2 shown]
	s_movk_i32 s33, 0x88
	v_mad_u32_u24 v86, v174, s33, 0
	ds_write2_b64 v86, v[76:77], v[4:5] offset1:1
	ds_write2_b64 v86, v[74:75], v[78:79] offset0:2 offset1:3
	ds_write2_b64 v86, v[18:19], v[90:91] offset0:4 offset1:5
	;; [unrolled: 1-line block ×7, first 2 shown]
	ds_write_b64 v86, v[2:3] offset:128
.LBB0_13:
	s_or_b64 exec, exec, s[56:57]
	v_add_f64 v[152:153], v[70:71], -v[6:7]
	v_add_f64 v[144:145], v[8:9], v[72:73]
	v_add_f64 v[156:157], v[66:67], -v[14:15]
	v_add_f64 v[140:141], v[16:17], v[68:69]
	;; [unrolled: 2-line block ×4, first 2 shown]
	v_mul_f64 v[166:167], v[152:153], s[20:21]
	v_mul_f64 v[168:169], v[152:153], s[36:37]
	v_mul_f64 v[170:171], v[152:153], s[30:31]
	v_mul_f64 v[172:173], v[152:153], s[24:25]
	v_mul_f64 v[158:159], v[156:157], s[36:37]
	v_mul_f64 v[160:161], v[156:157], s[24:25]
	v_mul_f64 v[162:163], v[156:157], s[34:35]
	v_mul_f64 v[164:165], v[156:157], s[28:29]
	v_fma_f64 v[4:5], v[144:145], s[2:3], -v[166:167]
	v_fma_f64 v[6:7], v[144:145], s[4:5], -v[168:169]
	;; [unrolled: 1-line block ×3, first 2 shown]
	v_mul_f64 v[148:149], v[124:125], s[30:31]
	v_mul_f64 v[146:147], v[124:125], s[34:35]
	v_fma_f64 v[14:15], v[144:145], s[10:11], -v[172:173]
	v_fma_f64 v[18:19], v[140:141], s[4:5], -v[158:159]
	;; [unrolled: 1-line block ×3, first 2 shown]
	v_add_f64 v[4:5], v[20:21], v[4:5]
	v_add_f64 v[6:7], v[20:21], v[6:7]
	v_fma_f64 v[58:59], v[140:141], s[16:17], -v[162:163]
	v_add_f64 v[10:11], v[20:21], v[10:11]
	v_mul_f64 v[154:155], v[124:125], s[46:47]
	v_fma_f64 v[62:63], v[140:141], s[18:19], -v[164:165]
	v_fma_f64 v[66:67], v[122:123], s[6:7], -v[148:149]
	;; [unrolled: 1-line block ×3, first 2 shown]
	v_add_f64 v[14:15], v[20:21], v[14:15]
	v_add_f64 v[4:5], v[18:19], v[4:5]
	;; [unrolled: 1-line block ×3, first 2 shown]
	v_mul_f64 v[150:151], v[124:125], s[40:41]
	v_mul_f64 v[134:135], v[110:111], s[24:25]
	v_add_f64 v[10:11], v[58:59], v[10:11]
	v_add_f64 v[108:109], v[54:55], -v[26:27]
	v_fma_f64 v[18:19], v[122:123], s[18:19], -v[154:155]
	v_mul_f64 v[142:143], v[110:111], s[28:29]
	v_add_f64 v[14:15], v[62:63], v[14:15]
	v_add_f64 v[4:5], v[66:67], v[4:5]
	;; [unrolled: 1-line block ×3, first 2 shown]
	v_fma_f64 v[22:23], v[122:123], s[22:23], -v[150:151]
	v_fma_f64 v[26:27], v[116:117], s[10:11], -v[134:135]
	v_mul_f64 v[136:137], v[110:111], s[40:41]
	v_mul_f64 v[138:139], v[110:111], s[38:39]
	v_add_f64 v[106:107], v[28:29], v[56:57]
	v_mul_f64 v[126:127], v[108:109], s[48:49]
	v_add_f64 v[10:11], v[18:19], v[10:11]
	v_fma_f64 v[18:19], v[116:117], s[18:19], -v[142:143]
	v_add_f64 v[54:55], v[50:51], -v[30:31]
	v_mul_f64 v[132:133], v[108:109], s[50:51]
	v_add_f64 v[14:15], v[22:23], v[14:15]
	v_add_f64 v[4:5], v[26:27], v[4:5]
	v_fma_f64 v[22:23], v[116:117], s[22:23], -v[136:137]
	v_fma_f64 v[26:27], v[116:117], s[2:3], -v[138:139]
	;; [unrolled: 1-line block ×3, first 2 shown]
	v_mul_f64 v[130:131], v[108:109], s[42:43]
	v_mul_f64 v[128:129], v[108:109], s[30:31]
	v_add_f64 v[50:51], v[32:33], v[52:53]
	v_add_f64 v[6:7], v[18:19], v[6:7]
	v_fma_f64 v[18:19], v[106:107], s[26:27], -v[132:133]
	v_mul_f64 v[120:121], v[54:55], s[40:41]
	v_mul_f64 v[118:119], v[54:55], s[34:35]
	v_add_f64 v[10:11], v[22:23], v[10:11]
	v_add_f64 v[14:15], v[26:27], v[14:15]
	v_add_f64 v[4:5], v[30:31], v[4:5]
	v_fma_f64 v[22:23], v[106:107], s[4:5], -v[130:131]
	v_fma_f64 v[30:31], v[106:107], s[6:7], -v[128:129]
	v_mul_f64 v[114:115], v[54:55], s[20:21]
	v_mul_f64 v[112:113], v[54:55], s[44:45]
	v_add_f64 v[6:7], v[18:19], v[6:7]
	v_add_f64 v[26:27], v[46:47], -v[34:35]
	v_fma_f64 v[18:19], v[50:51], s[22:23], -v[120:121]
	v_fma_f64 v[58:59], v[50:51], s[16:17], -v[118:119]
	v_add_f64 v[10:11], v[22:23], v[10:11]
	v_add_f64 v[14:15], v[30:31], v[14:15]
	v_fma_f64 v[30:31], v[50:51], s[2:3], -v[114:115]
	v_fma_f64 v[34:35], v[50:51], s[26:27], -v[112:113]
	v_add_f64 v[22:23], v[36:37], v[48:49]
	v_mul_f64 v[66:67], v[26:27], s[44:45]
	v_mul_f64 v[70:71], v[26:27], s[52:53]
	;; [unrolled: 1-line block ×4, first 2 shown]
	v_add_f64 v[6:7], v[18:19], v[6:7]
	v_add_f64 v[18:19], v[42:43], -v[38:39]
	v_add_f64 v[4:5], v[58:59], v[4:5]
	v_add_f64 v[10:11], v[30:31], v[10:11]
	;; [unrolled: 1-line block ×3, first 2 shown]
	v_fma_f64 v[62:63], v[22:23], s[26:27], -v[66:67]
	v_fma_f64 v[74:75], v[22:23], s[6:7], -v[70:71]
	;; [unrolled: 1-line block ×4, first 2 shown]
	v_add_f64 v[14:15], v[40:41], v[44:45]
	v_mul_f64 v[42:43], v[18:19], s[28:29]
	v_mul_f64 v[38:39], v[18:19], s[38:39]
	;; [unrolled: 1-line block ×4, first 2 shown]
	v_add_f64 v[4:5], v[62:63], v[4:5]
	v_add_f64 v[62:63], v[74:75], v[6:7]
	v_add_f64 v[10:11], v[76:77], v[10:11]
	v_add_f64 v[74:75], v[78:79], v[58:59]
	v_fma_f64 v[6:7], v[14:15], s[18:19], -v[42:43]
	v_fma_f64 v[58:59], v[14:15], s[2:3], -v[38:39]
	;; [unrolled: 1-line block ×4, first 2 shown]
	v_lshl_add_u32 v175, v174, 3, 0
	v_add_u32_e32 v176, 0x800, v175
	v_add_u32_e32 v177, 0x1000, v175
	v_add_u32_e32 v178, 0x1c00, v175
	v_add_f64 v[6:7], v[6:7], v[4:5]
	v_add_f64 v[58:59], v[58:59], v[62:63]
	;; [unrolled: 1-line block ×4, first 2 shown]
	v_add_u32_e32 v179, 0x2400, v175
	v_add_u32_e32 v180, 0x2e00, v175
	s_waitcnt lgkmcnt(0)
	s_barrier
	ds_read2_b64 v[74:77], v175 offset1:153
	ds_read2_b64 v[94:97], v176 offset0:50 offset1:203
	ds_read2_b64 v[90:93], v177 offset0:100 offset1:253
	;; [unrolled: 1-line block ×5, first 2 shown]
	ds_read_b64 v[10:11], v175 offset:14688
	s_waitcnt lgkmcnt(0)
	s_barrier
	s_and_saveexec_b64 s[20:21], s[0:1]
	s_cbranch_execz .LBB0_15
; %bb.14:
	v_add_f64 v[72:73], v[72:73], v[20:21]
	v_mul_f64 v[183:184], v[144:145], s[4:5]
	v_mul_f64 v[185:186], v[144:145], s[6:7]
	;; [unrolled: 1-line block ×7, first 2 shown]
	v_add_f64 v[68:69], v[68:69], v[72:73]
	v_mul_f64 v[235:236], v[14:15], s[4:5]
	s_mov_b32 s4, 0x923c349f
	s_mov_b32 s6, 0x6c9a05f6
	;; [unrolled: 1-line block ×4, first 2 shown]
	v_mul_f64 v[191:192], v[140:141], s[10:11]
	v_mul_f64 v[72:73], v[140:141], s[16:17]
	v_add_f64 v[64:65], v[64:65], v[68:69]
	v_mul_f64 v[193:194], v[140:141], s[18:19]
	v_mul_f64 v[181:182], v[144:145], s[2:3]
	;; [unrolled: 1-line block ×7, first 2 shown]
	v_add_f64 v[60:61], v[60:61], v[64:65]
	v_mul_f64 v[64:65], v[50:51], s[16:17]
	v_mul_f64 v[217:218], v[50:51], s[22:23]
	;; [unrolled: 1-line block ×4, first 2 shown]
	s_mov_b32 s0, 0xc61f0d01
	s_mov_b32 s2, 0x6ed5f1bb
	;; [unrolled: 1-line block ×3, first 2 shown]
	v_add_f64 v[56:57], v[56:57], v[60:61]
	v_mul_f64 v[60:61], v[22:23], s[16:17]
	s_mov_b32 s22, 0xacd6c6b4
	s_mov_b32 s16, 0x7c9e640b
	v_mul_f64 v[211:212], v[106:107], s[26:27]
	v_mul_f64 v[221:222], v[50:51], s[26:27]
	;; [unrolled: 1-line block ×4, first 2 shown]
	v_add_f64 v[52:53], v[52:53], v[56:57]
	s_mov_b32 s1, 0xbfd183b1
	s_mov_b32 s3, 0xbfe348c8
	;; [unrolled: 1-line block ×7, first 2 shown]
	v_add_f64 v[48:49], v[48:49], v[52:53]
	s_mov_b32 s25, 0x3fd71e95
	s_mov_b32 s24, 0x5d8e7cdc
	;; [unrolled: 1-line block ×4, first 2 shown]
	v_mul_f64 v[187:188], v[144:145], s[10:11]
	v_mul_f64 v[52:53], v[152:153], s[36:37]
	;; [unrolled: 1-line block ×3, first 2 shown]
	v_add_f64 v[44:45], v[44:45], v[48:49]
	v_mul_f64 v[48:49], v[152:153], s[6:7]
	v_mul_f64 v[237:238], v[156:157], s[26:27]
	v_add_f64 v[170:171], v[185:186], v[170:171]
	v_add_f64 v[72:73], v[72:73], v[162:163]
	s_mov_b32 s34, 0x910ea3b9
	s_mov_b32 s35, 0xbfeb34fa
	v_add_f64 v[166:167], v[181:182], v[166:167]
	v_add_f64 v[40:41], v[40:41], v[44:45]
	v_mul_f64 v[44:45], v[152:153], s[4:5]
	v_mul_f64 v[152:153], v[156:157], s[16:17]
	;; [unrolled: 1-line block ×3, first 2 shown]
	v_add_f64 v[168:169], v[183:184], v[168:169]
	v_add_f64 v[172:173], v[187:188], v[172:173]
	v_fma_f64 v[181:182], v[144:145], s[18:19], v[56:57]
	v_fma_f64 v[56:57], v[144:145], s[18:19], -v[56:57]
	v_add_f64 v[36:37], v[36:37], v[40:41]
	v_mul_f64 v[40:41], v[156:157], s[24:25]
	v_mul_f64 v[156:157], v[156:157], s[28:29]
	v_fma_f64 v[162:163], v[144:145], s[0:1], v[44:45]
	v_fma_f64 v[44:45], v[144:145], s[0:1], -v[44:45]
	v_add_f64 v[170:171], v[20:21], v[170:171]
	v_mul_f64 v[203:204], v[116:117], s[10:11]
	v_mul_f64 v[227:228], v[22:23], s[10:11]
	v_add_f64 v[32:33], v[32:33], v[36:37]
	v_add_f64 v[36:37], v[189:190], v[158:159]
	;; [unrolled: 1-line block ×4, first 2 shown]
	v_fma_f64 v[164:165], v[144:145], s[2:3], v[48:49]
	s_mov_b32 s10, 0x2b2883cd
	s_mov_b32 s30, 0x370991
	;; [unrolled: 1-line block ×3, first 2 shown]
	v_add_f64 v[28:29], v[28:29], v[32:33]
	v_fma_f64 v[32:33], v[144:145], s[2:3], -v[48:49]
	v_fma_f64 v[48:49], v[144:145], s[34:35], v[52:53]
	v_fma_f64 v[52:53], v[144:145], s[34:35], -v[52:53]
	v_add_f64 v[166:167], v[20:21], v[166:167]
	s_mov_b32 s31, 0x3fedd6d0
	v_fma_f64 v[144:145], v[140:141], s[34:35], v[237:238]
	v_fma_f64 v[183:184], v[140:141], s[34:35], -v[237:238]
	v_add_f64 v[24:25], v[24:25], v[28:29]
	v_fma_f64 v[28:29], v[140:141], s[0:1], v[156:157]
	v_fma_f64 v[156:157], v[140:141], s[0:1], -v[156:157]
	v_add_f64 v[168:169], v[20:21], v[168:169]
	v_add_f64 v[172:173], v[20:21], v[172:173]
	;; [unrolled: 1-line block ×12, first 2 shown]
	s_mov_b32 s38, 0x2a9d6da3
	v_add_f64 v[12:13], v[16:17], v[12:13]
	v_add_f64 v[16:17], v[36:37], v[166:167]
	;; [unrolled: 1-line block ×3, first 2 shown]
	v_fma_f64 v[44:45], v[140:141], s[10:11], -v[152:153]
	s_mov_b32 s39, 0x3fe58eea
	v_add_f64 v[36:37], v[158:159], v[168:169]
	v_add_f64 v[146:147], v[197:198], v[146:147]
	s_mov_b32 s25, 0xbfd71e95
	v_add_f64 v[8:9], v[8:9], v[12:13]
	v_fma_f64 v[12:13], v[140:141], s[10:11], v[152:153]
	v_fma_f64 v[152:153], v[140:141], s[30:31], v[40:41]
	v_fma_f64 v[40:41], v[140:141], s[30:31], -v[40:41]
	v_add_f64 v[140:141], v[195:196], v[148:149]
	v_add_f64 v[148:149], v[199:200], v[154:155]
	s_mov_b32 s40, 0x75d4884
	s_mov_b32 s29, 0xbfefdd0d
	;; [unrolled: 1-line block ×4, first 2 shown]
	v_add_f64 v[24:25], v[183:184], v[24:25]
	v_add_f64 v[20:21], v[40:41], v[20:21]
	;; [unrolled: 1-line block ×4, first 2 shown]
	v_mul_f64 v[56:57], v[124:125], s[38:39]
	v_mul_f64 v[140:141], v[124:125], s[24:25]
	v_add_f64 v[36:37], v[146:147], v[36:37]
	v_mul_f64 v[146:147], v[124:125], s[28:29]
	s_mov_b32 s26, 0x3259b75e
	v_add_f64 v[32:33], v[156:157], v[32:33]
	v_add_f64 v[44:45], v[44:45], v[52:53]
	;; [unrolled: 1-line block ×3, first 2 shown]
	v_fma_f64 v[148:149], v[122:123], s[40:41], v[56:57]
	v_fma_f64 v[56:57], v[122:123], s[40:41], -v[56:57]
	v_fma_f64 v[150:151], v[122:123], s[30:31], v[140:141]
	v_fma_f64 v[140:141], v[122:123], s[30:31], -v[140:141]
	s_mov_b32 s27, 0x3fb79ee6
	v_mul_f64 v[124:125], v[124:125], s[36:37]
	v_mul_f64 v[68:69], v[116:117], s[18:19]
	v_add_f64 v[12:13], v[12:13], v[48:49]
	v_add_f64 v[48:49], v[152:153], v[164:165]
	;; [unrolled: 1-line block ×3, first 2 shown]
	v_fma_f64 v[56:57], v[122:123], s[26:27], -v[146:147]
	v_fma_f64 v[152:153], v[122:123], s[26:27], v[146:147]
	v_add_f64 v[32:33], v[140:141], v[32:33]
	v_fma_f64 v[140:141], v[122:123], s[34:35], v[124:125]
	v_fma_f64 v[122:123], v[122:123], s[34:35], -v[124:125]
	v_add_f64 v[124:125], v[203:204], v[134:135]
	s_mov_b32 s43, 0xbfeca52d
	s_mov_b32 s42, s16
	v_add_f64 v[68:69], v[68:69], v[142:143]
	v_add_f64 v[44:45], v[56:57], v[44:45]
	v_mul_f64 v[56:57], v[110:111], s[42:43]
	v_add_f64 v[72:73], v[160:161], v[172:173]
	v_add_f64 v[144:145], v[144:145], v[162:163]
	;; [unrolled: 1-line block ×3, first 2 shown]
	v_mul_f64 v[124:125], v[110:111], s[36:37]
	s_mov_b32 s37, 0x3fe9895b
	s_mov_b32 s36, s6
	v_add_f64 v[36:37], v[68:69], v[36:37]
	v_add_f64 v[68:69], v[205:206], v[136:137]
	v_fma_f64 v[134:135], v[116:117], s[10:11], v[56:57]
	v_mul_f64 v[136:137], v[110:111], s[36:37]
	v_fma_f64 v[56:57], v[116:117], s[10:11], -v[56:57]
	v_add_f64 v[52:53], v[52:53], v[72:73]
	v_add_f64 v[72:73], v[148:149], v[144:145]
	;; [unrolled: 1-line block ×5, first 2 shown]
	v_mul_f64 v[68:69], v[110:111], s[38:39]
	v_add_f64 v[28:29], v[150:151], v[28:29]
	v_add_f64 v[24:25], v[56:57], v[24:25]
	v_fma_f64 v[56:57], v[116:117], s[2:3], -v[136:137]
	v_fma_f64 v[110:111], v[116:117], s[34:35], v[124:125]
	v_add_f64 v[72:73], v[134:135], v[72:73]
	v_add_f64 v[52:53], v[122:123], v[52:53]
	v_fma_f64 v[122:123], v[116:117], s[34:35], -v[124:125]
	v_fma_f64 v[124:125], v[116:117], s[2:3], v[136:137]
	v_fma_f64 v[134:135], v[116:117], s[40:41], v[68:69]
	v_fma_f64 v[68:69], v[116:117], s[40:41], -v[68:69]
	v_mul_f64 v[116:117], v[108:109], s[22:23]
	v_add_f64 v[44:45], v[56:57], v[44:45]
	v_add_f64 v[56:57], v[211:212], v[132:133]
	;; [unrolled: 1-line block ×8, first 2 shown]
	v_fma_f64 v[122:123], v[106:107], s[18:19], v[116:117]
	v_add_f64 v[36:37], v[56:57], v[36:37]
	v_mul_f64 v[56:57], v[108:109], s[24:25]
	s_mov_b32 s29, 0x3fefdd0d
	v_add_f64 v[12:13], v[124:125], v[12:13]
	v_add_f64 v[16:17], v[110:111], v[16:17]
	;; [unrolled: 1-line block ×3, first 2 shown]
	v_mul_f64 v[124:125], v[108:109], s[28:29]
	v_add_f64 v[40:41], v[68:69], v[40:41]
	v_mul_f64 v[68:69], v[108:109], s[6:7]
	v_add_f64 v[72:73], v[122:123], v[72:73]
	v_fma_f64 v[122:123], v[106:107], s[30:31], v[56:57]
	v_fma_f64 v[56:57], v[106:107], s[30:31], -v[56:57]
	v_add_f64 v[64:65], v[64:65], v[118:119]
	v_add_f64 v[48:49], v[140:141], v[48:49]
	v_fma_f64 v[108:109], v[106:107], s[18:19], -v[116:117]
	v_add_f64 v[52:53], v[110:111], v[52:53]
	v_fma_f64 v[110:111], v[106:107], s[26:27], v[124:125]
	v_fma_f64 v[116:117], v[106:107], s[26:27], -v[124:125]
	v_fma_f64 v[124:125], v[106:107], s[2:3], v[68:69]
	v_fma_f64 v[68:69], v[106:107], s[2:3], -v[68:69]
	v_add_f64 v[44:45], v[56:57], v[44:45]
	v_add_f64 v[56:57], v[217:218], v[120:121]
	;; [unrolled: 1-line block ×3, first 2 shown]
	v_mul_f64 v[64:65], v[54:55], s[28:29]
	s_mov_b32 s35, 0xbfe58eea
	s_mov_b32 s34, s38
	v_add_f64 v[48:49], v[134:135], v[48:49]
	v_add_f64 v[24:25], v[108:109], v[24:25]
	;; [unrolled: 1-line block ×5, first 2 shown]
	v_mul_f64 v[106:107], v[54:55], s[34:35]
	v_add_f64 v[36:37], v[56:57], v[36:37]
	v_add_f64 v[56:57], v[221:222], v[112:113]
	v_mul_f64 v[108:109], v[54:55], s[22:23]
	v_fma_f64 v[110:111], v[50:51], s[26:27], v[64:65]
	v_fma_f64 v[64:65], v[50:51], s[26:27], -v[64:65]
	v_mul_f64 v[54:55], v[54:55], s[16:17]
	v_add_f64 v[12:13], v[122:123], v[12:13]
	v_add_f64 v[48:49], v[124:125], v[48:49]
	;; [unrolled: 1-line block ×3, first 2 shown]
	v_fma_f64 v[68:69], v[50:51], s[40:41], v[106:107]
	v_fma_f64 v[106:107], v[50:51], s[40:41], -v[106:107]
	v_add_f64 v[52:53], v[56:57], v[52:53]
	v_fma_f64 v[56:57], v[50:51], s[18:19], v[108:109]
	v_fma_f64 v[108:109], v[50:51], s[18:19], -v[108:109]
	v_add_f64 v[24:25], v[64:65], v[24:25]
	;; [unrolled: 3-line block ×3, first 2 shown]
	v_mul_f64 v[66:67], v[26:27], s[24:25]
	v_add_f64 v[46:47], v[60:61], v[46:47]
	v_add_f64 v[12:13], v[56:57], v[12:13]
	;; [unrolled: 1-line block ×3, first 2 shown]
	v_mul_f64 v[229:230], v[14:15], s[18:19]
	v_add_f64 v[48:49], v[64:65], v[48:49]
	v_add_f64 v[64:65], v[227:228], v[104:105]
	;; [unrolled: 1-line block ×4, first 2 shown]
	v_mul_f64 v[50:51], v[26:27], s[22:23]
	v_mul_f64 v[54:55], v[26:27], s[38:39]
	;; [unrolled: 1-line block ×3, first 2 shown]
	v_add_f64 v[32:33], v[116:117], v[32:33]
	v_add_f64 v[36:37], v[56:57], v[36:37]
	;; [unrolled: 1-line block ×3, first 2 shown]
	v_fma_f64 v[56:57], v[22:23], s[30:31], v[66:67]
	v_add_f64 v[46:47], v[46:47], v[52:53]
	v_fma_f64 v[52:53], v[22:23], s[30:31], -v[66:67]
	v_fma_f64 v[60:61], v[22:23], s[18:19], v[50:51]
	v_fma_f64 v[50:51], v[22:23], s[18:19], -v[50:51]
	v_fma_f64 v[64:65], v[22:23], s[40:41], v[54:55]
	;; [unrolled: 2-line block ×3, first 2 shown]
	v_fma_f64 v[22:23], v[22:23], s[0:1], -v[26:27]
	v_add_f64 v[28:29], v[68:69], v[28:29]
	v_add_f64 v[32:33], v[106:107], v[32:33]
	;; [unrolled: 1-line block ×9, first 2 shown]
	v_mul_f64 v[38:39], v[18:19], s[6:7]
	v_add_f64 v[26:27], v[60:61], v[28:29]
	v_add_f64 v[28:29], v[50:51], v[32:33]
	;; [unrolled: 1-line block ×4, first 2 shown]
	v_mul_f64 v[48:49], v[18:19], s[16:17]
	v_add_f64 v[16:17], v[42:43], v[16:17]
	v_mul_f64 v[42:43], v[18:19], s[4:5]
	v_mul_f64 v[18:19], v[18:19], s[28:29]
	v_add_f64 v[56:57], v[56:57], v[72:73]
	v_add_f64 v[22:23], v[22:23], v[36:37]
	v_fma_f64 v[36:37], v[14:15], s[2:3], v[38:39]
	v_add_f64 v[12:13], v[64:65], v[12:13]
	v_add_f64 v[34:35], v[34:35], v[40:41]
	;; [unrolled: 1-line block ×3, first 2 shown]
	v_fma_f64 v[40:41], v[14:15], s[10:11], v[48:49]
	v_fma_f64 v[46:47], v[14:15], s[10:11], -v[48:49]
	v_fma_f64 v[48:49], v[14:15], s[0:1], v[42:43]
	v_fma_f64 v[50:51], v[14:15], s[26:27], v[18:19]
	v_fma_f64 v[18:19], v[14:15], s[26:27], -v[18:19]
	v_fma_f64 v[42:43], v[14:15], s[0:1], -v[42:43]
	v_add_f64 v[24:25], v[52:53], v[24:25]
	v_fma_f64 v[14:15], v[14:15], s[2:3], -v[38:39]
	v_add_f64 v[36:37], v[36:37], v[56:57]
	v_add_f64 v[26:27], v[40:41], v[26:27]
	;; [unrolled: 1-line block ×8, first 2 shown]
	v_lshl_add_u32 v24, v174, 7, v175
	ds_write2_b64 v24, v[8:9], v[16:17] offset1:1
	ds_write2_b64 v24, v[22:23], v[34:35] offset0:2 offset1:3
	ds_write2_b64 v24, v[30:31], v[36:37] offset0:4 offset1:5
	;; [unrolled: 1-line block ×7, first 2 shown]
	ds_write_b64 v24, v[6:7] offset:128
.LBB0_15:
	s_or_b64 exec, exec, s[20:21]
	s_movk_i32 s0, 0xf1
	v_mul_lo_u16_sdwa v8, v174, s0 dst_sel:DWORD dst_unused:UNUSED_PAD src0_sel:BYTE_0 src1_sel:DWORD
	v_lshrrev_b16_e32 v24, 12, v8
	v_mul_lo_u16_e32 v8, 17, v24
	v_sub_u16_e32 v25, v174, v8
	v_mov_b32_e32 v8, 12
	v_mul_u32_u24_sdwa v8, v25, v8 dst_sel:DWORD dst_unused:UNUSED_PAD src0_sel:BYTE_0 src1_sel:DWORD
	v_lshlrev_b32_e32 v8, 4, v8
	s_waitcnt lgkmcnt(0)
	s_barrier
	global_load_dwordx4 v[12:15], v8, s[8:9]
	global_load_dwordx4 v[20:23], v8, s[8:9] offset:16
	global_load_dwordx4 v[26:29], v8, s[8:9] offset:32
	;; [unrolled: 1-line block ×11, first 2 shown]
	ds_read2_b64 v[16:19], v175 offset1:153
	ds_read2_b64 v[42:45], v176 offset0:50 offset1:203
	ds_read2_b64 v[118:121], v177 offset0:100 offset1:253
	;; [unrolled: 1-line block ×5, first 2 shown]
	ds_read_b64 v[8:9], v175 offset:14688
	s_mov_b32 s38, 0x4267c47c
	s_mov_b32 s22, 0x42a4c3d2
	;; [unrolled: 1-line block ×36, first 2 shown]
	v_mul_u32_u24_e32 v24, 0x6e8, v24
	s_waitcnt vmcnt(0) lgkmcnt(0)
	s_barrier
	s_movk_i32 s0, 0x44
	v_cmp_gt_u32_e64 s[0:1], s0, v174
	v_mul_f64 v[50:51], v[18:19], v[14:15]
	v_mul_f64 v[52:53], v[42:43], v[22:23]
	;; [unrolled: 1-line block ×10, first 2 shown]
	v_fma_f64 v[106:107], v[76:77], v[12:13], -v[50:51]
	v_mul_f64 v[66:67], v[10:11], v[116:117]
	v_mul_f64 v[152:153], v[8:9], v[116:117]
	v_fma_f64 v[104:105], v[94:95], v[20:21], -v[52:53]
	v_fma_f64 v[94:95], v[96:97], v[26:27], -v[60:61]
	;; [unrolled: 1-line block ×3, first 2 shown]
	v_mul_f64 v[146:147], v[130:131], v[72:73]
	v_mul_f64 v[148:149], v[78:79], v[72:73]
	v_fma_f64 v[72:73], v[44:45], v[26:27], v[28:29]
	v_fma_f64 v[66:67], v[8:9], v[114:115], v[66:67]
	v_add_f64 v[8:9], v[74:75], v[106:107]
	v_fma_f64 v[44:45], v[92:93], v[34:35], -v[134:135]
	v_mul_f64 v[14:15], v[76:77], v[14:15]
	v_mul_f64 v[40:41], v[86:87], v[40:41]
	;; [unrolled: 1-line block ×3, first 2 shown]
	v_fma_f64 v[76:77], v[42:43], v[20:21], v[22:23]
	v_fma_f64 v[22:23], v[86:87], v[38:39], -v[136:137]
	v_mul_f64 v[48:49], v[88:89], v[48:49]
	v_add_f64 v[8:9], v[8:9], v[104:105]
	v_mul_f64 v[140:141], v[126:127], v[56:57]
	v_fma_f64 v[108:109], v[18:19], v[12:13], v[14:15]
	v_fma_f64 v[18:19], v[122:123], v[38:39], v[40:41]
	v_fma_f64 v[40:41], v[88:89], v[46:47], -v[138:139]
	v_mul_f64 v[56:57], v[82:83], v[56:57]
	v_mul_f64 v[150:151], v[132:133], v[112:113]
	v_mul_f64 v[112:113], v[80:81], v[112:113]
	v_add_f64 v[8:9], v[8:9], v[94:95]
	v_fma_f64 v[20:21], v[124:125], v[46:47], v[48:49]
	v_fma_f64 v[48:49], v[82:83], v[54:55], -v[140:141]
	v_mul_f64 v[32:33], v[90:91], v[32:33]
	v_mul_f64 v[36:37], v[92:93], v[36:37]
	v_fma_f64 v[46:47], v[126:127], v[54:55], v[56:57]
	v_fma_f64 v[54:55], v[84:85], v[64:65], -v[142:143]
	v_fma_f64 v[82:83], v[10:11], v[114:115], -v[152:153]
	v_add_f64 v[8:9], v[8:9], v[52:53]
	v_fma_f64 v[68:69], v[132:133], v[110:111], v[112:113]
	v_add_f64 v[10:11], v[108:109], -v[66:67]
	v_fma_f64 v[50:51], v[118:119], v[30:31], v[32:33]
	v_fma_f64 v[42:43], v[120:121], v[34:35], v[36:37]
	v_fma_f64 v[80:81], v[80:81], v[110:111], -v[150:151]
	v_fma_f64 v[78:79], v[78:79], v[70:71], -v[146:147]
	v_fma_f64 v[70:71], v[130:131], v[70:71], v[148:149]
	v_add_f64 v[8:9], v[8:9], v[44:45]
	v_add_f64 v[12:13], v[106:107], v[82:83]
	v_add_f64 v[26:27], v[76:77], -v[68:69]
	v_mul_f64 v[32:33], v[10:11], s[38:39]
	v_mul_f64 v[34:35], v[10:11], s[22:23]
	;; [unrolled: 1-line block ×5, first 2 shown]
	v_add_f64 v[8:9], v[8:9], v[22:23]
	v_mul_f64 v[10:11], v[10:11], s[26:27]
	v_fma_f64 v[60:61], v[128:129], v[64:65], v[144:145]
	v_add_f64 v[14:15], v[104:105], v[80:81]
	v_add_f64 v[30:31], v[72:73], -v[70:71]
	v_mul_f64 v[64:65], v[26:27], s[22:23]
	v_mul_f64 v[84:85], v[26:27], s[16:17]
	;; [unrolled: 1-line block ×3, first 2 shown]
	v_add_f64 v[8:9], v[8:9], v[40:41]
	v_mul_f64 v[88:89], v[26:27], s[36:37]
	v_mul_f64 v[90:91], v[26:27], s[28:29]
	;; [unrolled: 1-line block ×3, first 2 shown]
	v_fma_f64 v[112:113], v[12:13], s[4:5], -v[32:33]
	v_fma_f64 v[32:33], v[12:13], s[4:5], v[32:33]
	v_fma_f64 v[114:115], v[12:13], s[2:3], -v[34:35]
	v_fma_f64 v[120:121], v[12:13], s[18:19], -v[56:57]
	v_add_f64 v[8:9], v[8:9], v[48:49]
	v_fma_f64 v[56:57], v[12:13], s[18:19], v[56:57]
	v_fma_f64 v[122:123], v[12:13], s[24:25], -v[10:11]
	v_fma_f64 v[10:11], v[12:13], s[24:25], v[10:11]
	v_add_f64 v[28:29], v[94:95], v[78:79]
	v_mul_f64 v[92:93], v[30:31], s[34:35]
	v_mul_f64 v[96:97], v[30:31], s[26:27]
	v_fma_f64 v[34:35], v[12:13], s[2:3], v[34:35]
	v_add_f64 v[8:9], v[8:9], v[54:55]
	v_fma_f64 v[116:117], v[12:13], s[6:7], -v[36:37]
	v_fma_f64 v[36:37], v[12:13], s[6:7], v[36:37]
	v_fma_f64 v[118:119], v[12:13], s[10:11], -v[38:39]
	v_fma_f64 v[38:39], v[12:13], s[10:11], v[38:39]
	;; [unrolled: 2-line block ×3, first 2 shown]
	v_fma_f64 v[124:125], v[14:15], s[10:11], -v[84:85]
	v_add_f64 v[8:9], v[8:9], v[78:79]
	v_fma_f64 v[84:85], v[14:15], s[10:11], v[84:85]
	v_fma_f64 v[126:127], v[14:15], s[24:25], -v[86:87]
	v_fma_f64 v[86:87], v[14:15], s[24:25], v[86:87]
	v_fma_f64 v[128:129], v[14:15], s[18:19], -v[88:89]
	v_fma_f64 v[88:89], v[14:15], s[18:19], v[88:89]
	v_fma_f64 v[130:131], v[14:15], s[6:7], -v[90:91]
	v_fma_f64 v[90:91], v[14:15], s[6:7], v[90:91]
	v_fma_f64 v[132:133], v[14:15], s[4:5], -v[26:27]
	v_fma_f64 v[14:15], v[14:15], s[4:5], v[26:27]
	v_add_f64 v[112:113], v[74:75], v[112:113]
	v_add_f64 v[32:33], v[74:75], v[32:33]
	;; [unrolled: 1-line block ×6, first 2 shown]
	v_mul_f64 v[110:111], v[30:31], s[42:43]
	v_fma_f64 v[26:27], v[28:29], s[6:7], -v[92:93]
	v_fma_f64 v[92:93], v[28:29], s[6:7], v[92:93]
	v_add_f64 v[34:35], v[74:75], v[34:35]
	v_add_f64 v[116:117], v[74:75], v[116:117]
	;; [unrolled: 1-line block ×10, first 2 shown]
	v_mul_f64 v[10:11], v[30:31], s[30:31]
	v_fma_f64 v[14:15], v[28:29], s[24:25], -v[96:97]
	v_add_f64 v[118:119], v[74:75], v[118:119]
	v_add_f64 v[120:121], v[74:75], v[120:121]
	;; [unrolled: 1-line block ×7, first 2 shown]
	v_fma_f64 v[96:97], v[28:29], s[24:25], v[96:97]
	v_add_f64 v[12:13], v[26:27], v[12:13]
	v_add_f64 v[26:27], v[92:93], v[32:33]
	v_fma_f64 v[32:33], v[28:29], s[10:11], -v[110:111]
	v_fma_f64 v[92:93], v[28:29], s[10:11], v[110:111]
	v_mul_f64 v[110:111], v[30:31], s[22:23]
	v_fma_f64 v[112:113], v[28:29], s[4:5], -v[10:11]
	v_add_f64 v[14:15], v[14:15], v[64:65]
	v_add_f64 v[64:65], v[50:51], -v[60:61]
	v_fma_f64 v[10:11], v[28:29], s[4:5], v[10:11]
	v_add_f64 v[84:85], v[128:129], v[118:119]
	v_mul_f64 v[30:31], v[30:31], s[20:21]
	v_add_f64 v[86:87], v[130:131], v[120:121]
	v_add_f64 v[34:35], v[96:97], v[34:35]
	;; [unrolled: 1-line block ×4, first 2 shown]
	v_fma_f64 v[74:75], v[28:29], s[2:3], -v[110:111]
	v_add_f64 v[92:93], v[52:53], v[54:55]
	v_mul_f64 v[96:97], v[64:65], s[16:17]
	v_add_f64 v[10:11], v[10:11], v[38:39]
	v_fma_f64 v[38:39], v[28:29], s[2:3], v[110:111]
	v_mul_f64 v[110:111], v[64:65], s[36:37]
	v_add_f64 v[84:85], v[112:113], v[84:85]
	v_fma_f64 v[112:113], v[28:29], s[18:19], -v[30:31]
	v_fma_f64 v[28:29], v[28:29], s[18:19], v[30:31]
	v_add_f64 v[74:75], v[74:75], v[86:87]
	v_mul_f64 v[86:87], v[64:65], s[30:31]
	v_fma_f64 v[30:31], v[92:93], s[10:11], -v[96:97]
	v_fma_f64 v[96:97], v[92:93], s[10:11], v[96:97]
	v_add_f64 v[38:39], v[38:39], v[56:57]
	v_fma_f64 v[56:57], v[92:93], s[18:19], -v[110:111]
	v_fma_f64 v[110:111], v[92:93], s[18:19], v[110:111]
	v_add_f64 v[8:9], v[28:29], v[8:9]
	v_mul_f64 v[28:29], v[64:65], s[34:35]
	v_add_f64 v[88:89], v[132:133], v[122:123]
	v_add_f64 v[12:13], v[30:31], v[12:13]
	;; [unrolled: 1-line block ×3, first 2 shown]
	v_add_f64 v[96:97], v[42:43], -v[46:47]
	v_add_f64 v[14:15], v[56:57], v[14:15]
	v_add_f64 v[30:31], v[110:111], v[34:35]
	v_fma_f64 v[34:35], v[92:93], s[4:5], v[86:87]
	v_mul_f64 v[56:57], v[64:65], s[44:45]
	v_fma_f64 v[114:115], v[92:93], s[4:5], -v[86:87]
	v_fma_f64 v[86:87], v[92:93], s[6:7], -v[28:29]
	v_fma_f64 v[28:29], v[92:93], s[6:7], v[28:29]
	v_mul_f64 v[64:65], v[64:65], s[40:41]
	v_add_f64 v[88:89], v[112:113], v[88:89]
	v_add_f64 v[110:111], v[44:45], v[48:49]
	;; [unrolled: 1-line block ×3, first 2 shown]
	v_fma_f64 v[36:37], v[92:93], s[24:25], -v[56:57]
	v_mul_f64 v[112:113], v[96:97], s[20:21]
	v_add_f64 v[84:85], v[86:87], v[84:85]
	v_fma_f64 v[56:57], v[92:93], s[24:25], v[56:57]
	v_add_f64 v[10:11], v[28:29], v[10:11]
	v_fma_f64 v[28:29], v[92:93], s[2:3], -v[64:65]
	v_mul_f64 v[86:87], v[96:97], s[28:29]
	v_fma_f64 v[64:65], v[92:93], s[2:3], v[64:65]
	v_add_f64 v[36:37], v[36:37], v[74:75]
	v_fma_f64 v[74:75], v[110:111], s[18:19], -v[112:113]
	v_mul_f64 v[92:93], v[96:97], s[22:23]
	v_add_f64 v[38:39], v[56:57], v[38:39]
	v_fma_f64 v[56:57], v[110:111], s[18:19], v[112:113]
	v_add_f64 v[28:29], v[28:29], v[88:89]
	v_fma_f64 v[88:89], v[110:111], s[6:7], -v[86:87]
	v_add_f64 v[8:9], v[64:65], v[8:9]
	v_fma_f64 v[64:65], v[110:111], s[6:7], v[86:87]
	v_add_f64 v[32:33], v[114:115], v[32:33]
	v_add_f64 v[12:13], v[74:75], v[12:13]
	v_fma_f64 v[74:75], v[110:111], s[2:3], -v[92:93]
	v_mul_f64 v[86:87], v[96:97], s[44:45]
	v_add_f64 v[26:27], v[56:57], v[26:27]
	v_fma_f64 v[56:57], v[110:111], s[2:3], v[92:93]
	v_add_f64 v[88:89], v[88:89], v[14:15]
	v_mul_f64 v[14:15], v[96:97], s[30:31]
	v_add_f64 v[30:31], v[64:65], v[30:31]
	v_add_f64 v[64:65], v[18:19], -v[20:21]
	v_add_f64 v[32:33], v[74:75], v[32:33]
	v_fma_f64 v[74:75], v[110:111], s[24:25], -v[86:87]
	v_mul_f64 v[92:93], v[96:97], s[16:17]
	v_add_f64 v[34:35], v[56:57], v[34:35]
	v_fma_f64 v[56:57], v[110:111], s[24:25], v[86:87]
	v_fma_f64 v[86:87], v[110:111], s[4:5], -v[14:15]
	v_add_f64 v[96:97], v[22:23], v[40:41]
	v_mul_f64 v[112:113], v[64:65], s[26:27]
	v_fma_f64 v[14:15], v[110:111], s[4:5], v[14:15]
	v_add_f64 v[74:75], v[74:75], v[84:85]
	v_fma_f64 v[84:85], v[110:111], s[10:11], -v[92:93]
	v_mul_f64 v[114:115], v[64:65], s[30:31]
	v_fma_f64 v[92:93], v[110:111], s[10:11], v[92:93]
	v_add_f64 v[56:57], v[56:57], v[10:11]
	v_add_f64 v[36:37], v[86:87], v[36:37]
	v_fma_f64 v[10:11], v[96:97], s[24:25], -v[112:113]
	v_add_f64 v[38:39], v[14:15], v[38:39]
	v_fma_f64 v[14:15], v[96:97], s[24:25], v[112:113]
	v_add_f64 v[28:29], v[84:85], v[28:29]
	v_fma_f64 v[84:85], v[96:97], s[4:5], -v[114:115]
	v_add_f64 v[86:87], v[92:93], v[8:9]
	v_fma_f64 v[8:9], v[96:97], s[4:5], v[114:115]
	v_mul_f64 v[92:93], v[64:65], s[20:21]
	v_add_f64 v[110:111], v[10:11], v[12:13]
	v_mul_f64 v[10:11], v[64:65], s[40:41]
	v_add_f64 v[14:15], v[14:15], v[26:27]
	v_mul_f64 v[26:27], v[64:65], s[16:17]
	v_mul_f64 v[64:65], v[64:65], s[28:29]
	v_add_f64 v[84:85], v[84:85], v[88:89]
	v_add_f64 v[12:13], v[8:9], v[30:31]
	v_fma_f64 v[8:9], v[96:97], s[18:19], -v[92:93]
	v_fma_f64 v[30:31], v[96:97], s[18:19], v[92:93]
	v_fma_f64 v[88:89], v[96:97], s[2:3], -v[10:11]
	v_fma_f64 v[92:93], v[96:97], s[2:3], v[10:11]
	v_fma_f64 v[112:113], v[96:97], s[10:11], -v[26:27]
	v_fma_f64 v[114:115], v[96:97], s[6:7], -v[64:65]
	v_fma_f64 v[64:65], v[96:97], s[6:7], v[64:65]
	v_fma_f64 v[26:27], v[96:97], s[10:11], v[26:27]
	v_add_f64 v[32:33], v[8:9], v[32:33]
	v_add_f64 v[10:11], v[30:31], v[34:35]
	;; [unrolled: 1-line block ×8, first 2 shown]
	v_mov_b32_e32 v38, 3
	v_lshlrev_b32_sdwa v25, v38, v25 dst_sel:DWORD dst_unused:UNUSED_PAD src0_sel:DWORD src1_sel:BYTE_0
	v_add3_u32 v74, 0, v24, v25
	ds_write2_b64 v74, v[90:91], v[110:111] offset1:17
	ds_write2_b64 v74, v[84:85], v[32:33] offset0:34 offset1:51
	ds_write2_b64 v74, v[30:31], v[34:35] offset0:68 offset1:85
	;; [unrolled: 1-line block ×5, first 2 shown]
	ds_write_b64 v74, v[14:15] offset:1632
	v_add_u32_e32 v75, 0xd00, v175
	v_add_u32_e32 v84, 0x1b00, v175
	;; [unrolled: 1-line block ×3, first 2 shown]
	s_waitcnt lgkmcnt(0)
	s_barrier
	ds_read2_b64 v[24:27], v175 offset1:221
	ds_read2_b64 v[32:35], v75 offset0:26 offset1:247
	ds_read2_b64 v[28:31], v84 offset0:20 offset1:241
	;; [unrolled: 1-line block ×3, first 2 shown]
	ds_read_b64 v[64:65], v175 offset:14144
                                        ; implicit-def: $vgpr56_vgpr57
	s_and_saveexec_b64 s[46:47], s[0:1]
	s_cbranch_execz .LBB0_17
; %bb.16:
	v_add_u32_e32 v0, 0x400, v175
	ds_read2_b64 v[8:11], v0 offset0:25 offset1:246
	v_add_u32_e32 v12, 0x1200, v175
	v_add_u32_e32 v13, 0x2000, v175
	;; [unrolled: 1-line block ×3, first 2 shown]
	ds_read2_b64 v[0:3], v0 offset0:7 offset1:228
	ds_read2_b64 v[86:89], v13 offset0:13 offset1:234
	;; [unrolled: 1-line block ×3, first 2 shown]
	ds_read_b64 v[56:57], v175 offset:15368
	s_waitcnt lgkmcnt(3)
	v_mov_b32_e32 v101, v1
	v_mov_b32_e32 v100, v0
	s_waitcnt lgkmcnt(2)
	v_mov_b32_e32 v0, v88
	v_mov_b32_e32 v103, v87
	;; [unrolled: 1-line block ×4, first 2 shown]
.LBB0_17:
	s_or_b64 exec, exec, s[46:47]
	v_add_f64 v[86:87], v[16:17], v[108:109]
	v_add_f64 v[90:91], v[76:77], v[68:69]
	;; [unrolled: 1-line block ×3, first 2 shown]
	v_add_f64 v[82:83], v[106:107], -v[82:83]
	v_add_f64 v[88:89], v[108:109], v[66:67]
	v_add_f64 v[80:81], v[104:105], -v[80:81]
	v_add_f64 v[78:79], v[94:95], -v[78:79]
	;; [unrolled: 1-line block ×3, first 2 shown]
	v_add_f64 v[76:77], v[86:87], v[76:77]
	v_add_f64 v[44:45], v[44:45], -v[48:49]
	v_add_f64 v[40:41], v[22:23], -v[40:41]
	v_mul_f64 v[86:87], v[82:83], s[38:39]
	v_mul_f64 v[94:95], v[82:83], s[22:23]
	;; [unrolled: 1-line block ×5, first 2 shown]
	v_add_f64 v[72:73], v[76:77], v[72:73]
	v_mul_f64 v[82:83], v[82:83], s[26:27]
	v_mul_f64 v[108:109], v[80:81], s[22:23]
	;; [unrolled: 1-line block ×4, first 2 shown]
	v_fma_f64 v[124:125], v[88:89], s[4:5], v[86:87]
	v_fma_f64 v[86:87], v[88:89], s[4:5], -v[86:87]
	v_fma_f64 v[126:127], v[88:89], s[2:3], v[94:95]
	v_add_f64 v[72:73], v[72:73], v[50:51]
	v_fma_f64 v[94:95], v[88:89], s[2:3], -v[94:95]
	v_fma_f64 v[128:129], v[88:89], s[6:7], v[96:97]
	v_fma_f64 v[96:97], v[88:89], s[6:7], -v[96:97]
	v_mul_f64 v[112:113], v[80:81], s[36:37]
	v_mul_f64 v[114:115], v[80:81], s[28:29]
	;; [unrolled: 1-line block ×4, first 2 shown]
	v_add_f64 v[72:73], v[72:73], v[42:43]
	v_mul_f64 v[118:119], v[78:79], s[26:27]
	v_mul_f64 v[120:121], v[78:79], s[42:43]
	v_fma_f64 v[130:131], v[88:89], s[10:11], v[104:105]
	v_fma_f64 v[104:105], v[88:89], s[10:11], -v[104:105]
	v_fma_f64 v[132:133], v[88:89], s[18:19], v[106:107]
	v_fma_f64 v[106:107], v[88:89], s[18:19], -v[106:107]
	v_fma_f64 v[134:135], v[88:89], s[24:25], v[82:83]
	v_add_f64 v[72:73], v[72:73], v[18:19]
	v_fma_f64 v[82:83], v[88:89], s[24:25], -v[82:83]
	v_fma_f64 v[88:89], v[90:91], s[2:3], v[108:109]
	v_fma_f64 v[108:109], v[90:91], s[2:3], -v[108:109]
	v_fma_f64 v[136:137], v[90:91], s[10:11], v[110:111]
	v_fma_f64 v[110:111], v[90:91], s[10:11], -v[110:111]
	v_fma_f64 v[138:139], v[90:91], s[24:25], v[76:77]
	v_add_f64 v[124:125], v[16:17], v[124:125]
	v_add_f64 v[72:73], v[72:73], v[20:21]
	;; [unrolled: 1-line block ×6, first 2 shown]
	v_fma_f64 v[76:77], v[90:91], s[24:25], -v[76:77]
	v_add_f64 v[96:97], v[16:17], v[96:97]
	v_mul_f64 v[122:123], v[78:79], s[30:31]
	v_add_f64 v[72:73], v[72:73], v[46:47]
	v_fma_f64 v[140:141], v[90:91], s[18:19], v[112:113]
	v_fma_f64 v[112:113], v[90:91], s[18:19], -v[112:113]
	v_fma_f64 v[142:143], v[90:91], s[6:7], v[114:115]
	v_fma_f64 v[114:115], v[90:91], s[6:7], -v[114:115]
	;; [unrolled: 2-line block ×3, first 2 shown]
	v_fma_f64 v[90:91], v[92:93], s[6:7], v[116:117]
	v_add_f64 v[72:73], v[72:73], v[60:61]
	v_fma_f64 v[116:117], v[92:93], s[6:7], -v[116:117]
	v_fma_f64 v[146:147], v[92:93], s[24:25], v[118:119]
	v_fma_f64 v[148:149], v[92:93], s[10:11], v[120:121]
	v_add_f64 v[130:131], v[16:17], v[130:131]
	v_add_f64 v[104:105], v[16:17], v[104:105]
	;; [unrolled: 1-line block ×18, first 2 shown]
	v_mul_f64 v[86:87], v[78:79], s[22:23]
	v_add_f64 v[54:55], v[148:149], v[94:95]
	v_add_f64 v[66:67], v[68:69], v[66:67]
	v_fma_f64 v[68:69], v[92:93], s[10:11], -v[120:121]
	v_fma_f64 v[94:95], v[92:93], s[4:5], -v[122:123]
	v_add_f64 v[96:97], v[140:141], v[130:131]
	v_add_f64 v[72:73], v[90:91], v[72:73]
	v_fma_f64 v[90:91], v[92:93], s[4:5], v[122:123]
	v_add_f64 v[50:51], v[50:51], v[60:61]
	v_mul_f64 v[60:61], v[52:53], s[16:17]
	v_add_f64 v[104:105], v[142:143], v[132:133]
	v_add_f64 v[68:69], v[68:69], v[76:77]
	v_mul_f64 v[76:77], v[78:79], s[20:21]
	v_add_f64 v[106:107], v[114:115], v[106:107]
	v_fma_f64 v[78:79], v[92:93], s[2:3], v[86:87]
	v_fma_f64 v[86:87], v[92:93], s[2:3], -v[86:87]
	v_add_f64 v[70:71], v[94:95], v[70:71]
	v_mul_f64 v[94:95], v[52:53], s[36:37]
	v_fma_f64 v[118:119], v[92:93], s[24:25], -v[118:119]
	v_add_f64 v[90:91], v[90:91], v[96:97]
	v_fma_f64 v[96:97], v[92:93], s[18:19], v[76:77]
	v_fma_f64 v[76:77], v[92:93], s[18:19], -v[76:77]
	v_fma_f64 v[92:93], v[50:51], s[10:11], v[60:61]
	v_add_f64 v[78:79], v[78:79], v[104:105]
	v_add_f64 v[86:87], v[86:87], v[106:107]
	v_mul_f64 v[104:105], v[52:53], s[30:31]
	v_fma_f64 v[60:61], v[50:51], s[10:11], -v[60:61]
	v_fma_f64 v[106:107], v[50:51], s[18:19], v[94:95]
	v_add_f64 v[88:89], v[118:119], v[88:89]
	v_add_f64 v[16:17], v[76:77], v[16:17]
	v_fma_f64 v[76:77], v[50:51], s[18:19], -v[94:95]
	v_add_f64 v[72:73], v[92:93], v[72:73]
	v_mul_f64 v[92:93], v[52:53], s[34:35]
	v_fma_f64 v[94:95], v[50:51], s[4:5], v[104:105]
	v_add_f64 v[60:61], v[60:61], v[80:81]
	v_add_f64 v[80:81], v[106:107], v[82:83]
	v_fma_f64 v[82:83], v[50:51], s[4:5], -v[104:105]
	v_mul_f64 v[104:105], v[52:53], s[44:45]
	v_add_f64 v[76:77], v[76:77], v[88:89]
	v_mul_f64 v[52:53], v[52:53], s[40:41]
	v_fma_f64 v[48:49], v[50:51], s[6:7], v[92:93]
	v_fma_f64 v[88:89], v[50:51], s[6:7], -v[92:93]
	v_add_f64 v[42:43], v[42:43], v[46:47]
	v_mul_f64 v[46:47], v[44:45], s[20:21]
	v_add_f64 v[68:69], v[82:83], v[68:69]
	v_fma_f64 v[82:83], v[50:51], s[24:25], v[104:105]
	v_mul_f64 v[92:93], v[44:45], s[28:29]
	v_add_f64 v[108:109], v[144:145], v[134:135]
	v_add_f64 v[48:49], v[48:49], v[90:91]
	v_fma_f64 v[90:91], v[50:51], s[24:25], -v[104:105]
	v_add_f64 v[70:71], v[88:89], v[70:71]
	v_fma_f64 v[88:89], v[50:51], s[2:3], v[52:53]
	v_fma_f64 v[50:51], v[50:51], s[2:3], -v[52:53]
	v_add_f64 v[52:53], v[82:83], v[78:79]
	v_fma_f64 v[78:79], v[42:43], s[18:19], v[46:47]
	v_mul_f64 v[82:83], v[44:45], s[22:23]
	v_fma_f64 v[46:47], v[42:43], s[18:19], -v[46:47]
	v_add_f64 v[86:87], v[90:91], v[86:87]
	v_fma_f64 v[90:91], v[42:43], s[6:7], v[92:93]
	v_add_f64 v[54:55], v[94:95], v[54:55]
	v_add_f64 v[16:17], v[50:51], v[16:17]
	v_fma_f64 v[50:51], v[42:43], s[6:7], -v[92:93]
	v_mul_f64 v[92:93], v[44:45], s[44:45]
	v_add_f64 v[72:73], v[78:79], v[72:73]
	v_add_f64 v[46:47], v[46:47], v[60:61]
	v_fma_f64 v[60:61], v[42:43], s[2:3], -v[82:83]
	v_fma_f64 v[78:79], v[42:43], s[2:3], v[82:83]
	v_mul_f64 v[82:83], v[44:45], s[30:31]
	v_mul_f64 v[44:45], v[44:45], s[16:17]
	v_add_f64 v[96:97], v[96:97], v[108:109]
	v_fma_f64 v[22:23], v[42:43], s[24:25], v[92:93]
	v_add_f64 v[18:19], v[18:19], v[20:21]
	v_mul_f64 v[20:21], v[40:41], s[26:27]
	v_add_f64 v[60:61], v[60:61], v[68:69]
	v_fma_f64 v[68:69], v[42:43], s[24:25], -v[92:93]
	v_add_f64 v[50:51], v[50:51], v[76:77]
	v_add_f64 v[54:55], v[78:79], v[54:55]
	v_fma_f64 v[76:77], v[42:43], s[4:5], v[82:83]
	v_fma_f64 v[78:79], v[42:43], s[4:5], -v[82:83]
	v_add_f64 v[48:49], v[22:23], v[48:49]
	v_fma_f64 v[22:23], v[42:43], s[10:11], v[44:45]
	v_fma_f64 v[42:43], v[42:43], s[10:11], -v[44:45]
	v_mul_f64 v[44:45], v[40:41], s[30:31]
	v_add_f64 v[88:89], v[88:89], v[96:97]
	v_add_f64 v[68:69], v[68:69], v[70:71]
	v_fma_f64 v[70:71], v[18:19], s[24:25], v[20:21]
	v_fma_f64 v[20:21], v[18:19], s[24:25], -v[20:21]
	v_add_f64 v[80:81], v[90:91], v[80:81]
	v_mul_f64 v[82:83], v[40:41], s[20:21]
	v_add_f64 v[42:43], v[42:43], v[16:17]
	v_fma_f64 v[16:17], v[18:19], s[4:5], v[44:45]
	v_add_f64 v[52:53], v[76:77], v[52:53]
	v_add_f64 v[76:77], v[78:79], v[86:87]
	;; [unrolled: 1-line block ×3, first 2 shown]
	v_fma_f64 v[44:45], v[18:19], s[4:5], -v[44:45]
	v_add_f64 v[70:71], v[70:71], v[72:73]
	v_mul_f64 v[72:73], v[40:41], s[40:41]
	v_add_f64 v[22:23], v[20:21], v[46:47]
	v_mul_f64 v[46:47], v[40:41], s[16:17]
	v_mul_f64 v[40:41], v[40:41], s[28:29]
	v_add_f64 v[80:81], v[16:17], v[80:81]
	v_fma_f64 v[16:17], v[18:19], s[18:19], v[82:83]
	v_add_f64 v[20:21], v[44:45], v[50:51]
	v_fma_f64 v[44:45], v[18:19], s[18:19], -v[82:83]
	v_fma_f64 v[50:51], v[18:19], s[2:3], v[72:73]
	v_fma_f64 v[72:73], v[18:19], s[2:3], -v[72:73]
	v_fma_f64 v[82:83], v[18:19], s[10:11], v[46:47]
	v_fma_f64 v[86:87], v[18:19], s[6:7], v[40:41]
	v_fma_f64 v[40:41], v[18:19], s[6:7], -v[40:41]
	v_fma_f64 v[46:47], v[18:19], s[10:11], -v[46:47]
	v_add_f64 v[54:55], v[16:17], v[54:55]
	v_add_f64 v[18:19], v[44:45], v[60:61]
	;; [unrolled: 1-line block ×8, first 2 shown]
	s_waitcnt lgkmcnt(0)
	s_barrier
	ds_write2_b64 v74, v[66:67], v[70:71] offset1:17
	ds_write2_b64 v74, v[80:81], v[54:55] offset0:34 offset1:51
	ds_write2_b64 v74, v[44:45], v[48:49] offset0:68 offset1:85
	;; [unrolled: 1-line block ×5, first 2 shown]
	ds_write_b64 v74, v[22:23] offset:1632
	s_waitcnt lgkmcnt(0)
	s_barrier
	ds_read2_b64 v[40:43], v175 offset1:221
	ds_read2_b64 v[44:47], v75 offset0:26 offset1:247
	ds_read2_b64 v[52:55], v84 offset0:20 offset1:241
	;; [unrolled: 1-line block ×3, first 2 shown]
	ds_read_b64 v[68:69], v175 offset:14144
                                        ; implicit-def: $vgpr60_vgpr61
	s_and_saveexec_b64 s[2:3], s[0:1]
	s_cbranch_execz .LBB0_19
; %bb.18:
	v_add_u32_e32 v4, 0x400, v175
	ds_read2_b64 v[16:19], v4 offset0:25 offset1:246
	v_add_u32_e32 v20, 0x1200, v175
	v_add_u32_e32 v21, 0x2000, v175
	;; [unrolled: 1-line block ×3, first 2 shown]
	ds_read2_b64 v[4:7], v4 offset0:7 offset1:228
	ds_read2_b64 v[70:73], v21 offset0:13 offset1:234
	;; [unrolled: 1-line block ×3, first 2 shown]
	ds_read_b64 v[60:61], v175 offset:15368
	s_waitcnt lgkmcnt(3)
	v_mov_b32_e32 v59, v5
	v_mov_b32_e32 v58, v4
	s_waitcnt lgkmcnt(2)
	v_mov_b32_e32 v4, v72
	v_mov_b32_e32 v62, v70
	;; [unrolled: 1-line block ×4, first 2 shown]
.LBB0_19:
	s_or_b64 exec, exec, s[2:3]
	s_and_saveexec_b64 s[2:3], vcc
	s_cbranch_execz .LBB0_22
; %bb.20:
	v_lshlrev_b32_e32 v66, 3, v174
	v_mov_b32_e32 v67, 0
	v_lshlrev_b64 v[70:71], 4, v[66:67]
	v_mov_b32_e32 v66, s9
	v_add_co_u32_e32 v108, vcc, s8, v70
	v_addc_co_u32_e32 v109, vcc, v66, v71, vcc
	global_load_dwordx4 v[70:73], v[108:109], off offset:3296
	global_load_dwordx4 v[74:77], v[108:109], off offset:3344
	;; [unrolled: 1-line block ×8, first 2 shown]
	s_mov_b32 s10, 0x8c811c17
	s_mov_b32 s20, 0xa2cf5039
	;; [unrolled: 1-line block ×18, first 2 shown]
	v_add_u32_e32 v66, 0xdd, v174
	s_waitcnt vmcnt(7) lgkmcnt(3)
	v_mul_f64 v[108:109], v[46:47], v[72:73]
	s_waitcnt vmcnt(6) lgkmcnt(1)
	v_mul_f64 v[110:111], v[48:49], v[76:77]
	s_waitcnt vmcnt(5)
	v_mul_f64 v[112:113], v[44:45], v[80:81]
	s_waitcnt vmcnt(4)
	v_mul_f64 v[114:115], v[50:51], v[84:85]
	v_mul_f64 v[80:81], v[32:33], v[80:81]
	;; [unrolled: 1-line block ×3, first 2 shown]
	s_waitcnt vmcnt(1)
	v_mul_f64 v[120:121], v[42:43], v[96:97]
	s_waitcnt vmcnt(0) lgkmcnt(0)
	v_mul_f64 v[122:123], v[68:69], v[106:107]
	v_mul_f64 v[116:117], v[52:53], v[88:89]
	;; [unrolled: 1-line block ×9, first 2 shown]
	v_fma_f64 v[32:33], v[32:33], v[78:79], -v[112:113]
	v_fma_f64 v[38:39], v[38:39], v[82:83], -v[114:115]
	;; [unrolled: 1-line block ×4, first 2 shown]
	v_fma_f64 v[44:45], v[44:45], v[78:79], v[80:81]
	v_fma_f64 v[50:51], v[50:51], v[82:83], v[84:85]
	v_fma_f64 v[28:29], v[28:29], v[86:87], -v[116:117]
	v_fma_f64 v[30:31], v[30:31], v[90:91], -v[118:119]
	v_fma_f64 v[52:53], v[52:53], v[86:87], v[88:89]
	v_fma_f64 v[54:55], v[54:55], v[90:91], v[92:93]
	;; [unrolled: 1-line block ×4, first 2 shown]
	v_fma_f64 v[34:35], v[34:35], v[70:71], -v[108:109]
	v_fma_f64 v[36:37], v[36:37], v[74:75], -v[110:111]
	v_fma_f64 v[42:43], v[42:43], v[94:95], v[96:97]
	v_fma_f64 v[68:69], v[68:69], v[104:105], v[106:107]
	v_add_f64 v[76:77], v[26:27], -v[64:65]
	v_add_f64 v[80:81], v[44:45], v[50:51]
	v_add_f64 v[44:45], v[44:45], -v[50:51]
	v_add_f64 v[50:51], v[32:33], v[38:39]
	v_add_f64 v[26:27], v[26:27], v[64:65]
	v_add_f64 v[74:75], v[28:29], -v[30:31]
	v_add_f64 v[82:83], v[46:47], v[48:49]
	v_add_f64 v[46:47], v[46:47], -v[48:49]
	v_add_f64 v[48:49], v[52:53], -v[54:55]
	;; [unrolled: 1-line block ×3, first 2 shown]
	v_add_f64 v[78:79], v[52:53], v[54:55]
	v_add_f64 v[84:85], v[42:43], v[68:69]
	;; [unrolled: 1-line block ×4, first 2 shown]
	v_add_f64 v[72:73], v[32:33], -v[38:39]
	v_mul_f64 v[36:37], v[74:75], s[10:11]
	v_fma_f64 v[38:39], v[80:81], s[20:21], v[40:41]
	v_add_f64 v[32:33], v[42:43], -v[68:69]
	v_add_f64 v[42:43], v[28:29], v[30:31]
	v_mul_f64 v[64:65], v[48:49], s[10:11]
	v_fma_f64 v[68:69], v[50:51], s[20:21], v[24:25]
	v_add_f64 v[86:87], v[80:81], v[84:85]
	v_fma_f64 v[104:105], v[78:79], s[20:21], v[40:41]
	v_mul_f64 v[106:107], v[74:75], s[6:7]
	v_add_f64 v[122:123], v[34:35], v[88:89]
	v_fma_f64 v[36:37], v[72:73], s[6:7], -v[36:37]
	v_fma_f64 v[38:39], v[78:79], s[18:19], v[38:39]
	v_mul_f64 v[108:109], v[48:49], s[6:7]
	v_fma_f64 v[110:111], v[42:43], s[20:21], v[24:25]
	v_fma_f64 v[64:65], v[44:45], s[6:7], -v[64:65]
	v_fma_f64 v[68:69], v[42:43], s[18:19], v[68:69]
	v_add_f64 v[92:93], v[40:41], v[82:83]
	v_add_f64 v[96:97], v[24:25], v[34:35]
	v_fma_f64 v[118:119], v[26:27], s[20:21], v[24:25]
	v_add_f64 v[120:121], v[82:83], v[86:87]
	v_add_f64 v[86:87], v[78:79], v[86:87]
	;; [unrolled: 1-line block ×3, first 2 shown]
	v_fma_f64 v[104:105], v[84:85], s[18:19], v[104:105]
	v_fma_f64 v[106:107], v[76:77], s[10:11], v[106:107]
	v_add_f64 v[28:29], v[28:29], v[122:123]
	v_mul_f64 v[112:113], v[76:77], s[24:25]
	v_fma_f64 v[114:115], v[84:85], s[20:21], v[40:41]
	v_mul_f64 v[116:117], v[32:33], s[24:25]
	v_fma_f64 v[36:37], v[70:71], s[2:3], v[36:37]
	v_fma_f64 v[38:39], v[82:83], -0.5, v[38:39]
	v_fma_f64 v[108:109], v[32:33], s[10:11], v[108:109]
	v_fma_f64 v[110:111], v[26:27], s[18:19], v[110:111]
	;; [unrolled: 1-line block ×3, first 2 shown]
	v_fma_f64 v[68:69], v[34:35], -0.5, v[68:69]
	v_fma_f64 v[118:119], v[50:51], s[18:19], v[118:119]
	v_add_f64 v[52:53], v[52:53], v[120:121]
	v_fma_f64 v[86:87], v[86:87], -0.5, v[92:93]
	v_fma_f64 v[88:89], v[88:89], -0.5, v[96:97]
	;; [unrolled: 1-line block ×3, first 2 shown]
	v_fma_f64 v[96:97], v[70:71], s[22:23], v[106:107]
	v_add_f64 v[30:31], v[30:31], v[28:29]
	v_add_f64 v[90:91], v[74:75], v[76:77]
	v_fma_f64 v[112:113], v[72:73], s[10:11], v[112:113]
	v_fma_f64 v[114:115], v[80:81], s[18:19], v[114:115]
	v_fma_f64 v[116:117], v[44:45], s[10:11], v[116:117]
	v_fma_f64 v[76:77], v[76:77], s[4:5], v[36:37]
	v_fma_f64 v[36:37], v[84:85], s[16:17], v[38:39]
	v_add_f64 v[94:95], v[48:49], v[32:33]
	v_fma_f64 v[38:39], v[32:33], s[4:5], v[64:65]
	v_fma_f64 v[26:27], v[26:27], s[16:17], v[68:69]
	;; [unrolled: 1-line block ×3, first 2 shown]
	v_fma_f64 v[68:69], v[34:35], -0.5, v[110:111]
	v_add_f64 v[52:53], v[54:55], v[52:53]
	v_fma_f64 v[54:55], v[34:35], -0.5, v[118:119]
	v_fma_f64 v[80:81], v[80:81], s[16:17], v[92:93]
	v_add_f64 v[34:35], v[24:25], v[30:31]
	v_fma_f64 v[24:25], v[72:73], s[4:5], v[96:97]
	v_fma_f64 v[70:71], v[70:71], s[2:3], v[112:113]
	v_fma_f64 v[82:83], v[82:83], -0.5, v[114:115]
	v_add_f64 v[28:29], v[36:37], -v[76:77]
	v_fma_f64 v[46:47], v[46:47], s[2:3], v[116:117]
	v_add_f64 v[94:95], v[94:95], -v[44:45]
	v_fma_f64 v[64:65], v[44:45], s[4:5], v[64:65]
	v_fma_f64 v[50:51], v[50:51], s[16:17], v[68:69]
	v_add_f64 v[44:45], v[80:81], -v[24:25]
	v_add_f64 v[90:91], v[90:91], -v[72:73]
	v_add_f64 v[36:37], v[40:41], v[52:53]
	v_fma_f64 v[40:41], v[76:77], 2.0, v[28:29]
	v_fma_f64 v[72:73], v[74:75], s[4:5], v[70:71]
	v_fma_f64 v[52:53], v[78:79], s[16:17], v[82:83]
	;; [unrolled: 1-line block ×4, first 2 shown]
	v_mad_u64_u32 v[54:55], s[26:27], s12, v174, 0
	v_mul_f64 v[68:69], v[94:95], s[2:3]
	v_fma_f64 v[30:31], v[94:95], s[2:3], v[88:89]
	v_add_f64 v[42:43], v[64:65], v[50:51]
	v_fma_f64 v[70:71], v[24:25], 2.0, v[44:45]
	v_mov_b32_e32 v24, v55
	v_mad_u64_u32 v[24:25], s[26:27], s13, v174, v[24:25]
	v_add_f64 v[52:53], v[52:53], -v[72:73]
	v_add_f64 v[50:51], v[76:77], v[46:47]
	v_fma_f64 v[46:47], v[68:69], -2.0, v[30:31]
	v_fma_f64 v[68:69], v[64:65], -2.0, v[42:43]
	v_mov_b32_e32 v55, v24
	v_mov_b32_e32 v25, s15
	v_add_co_u32_e32 v24, vcc, s14, v98
	v_mad_u64_u32 v[64:65], s[14:15], s12, v66, 0
	v_add_f64 v[26:27], v[38:39], v[26:27]
	v_fma_f64 v[74:75], v[72:73], 2.0, v[52:53]
	v_mad_u64_u32 v[65:66], s[14:15], s13, v66, v[65:66]
	v_add_u32_e32 v66, 0x1ba, v174
	v_fma_f64 v[72:73], v[76:77], -2.0, v[50:51]
	v_lshlrev_b64 v[54:55], 4, v[54:55]
	v_mad_u64_u32 v[76:77], s[14:15], s12, v66, 0
	v_addc_co_u32_e32 v25, vcc, v25, v99, vcc
	v_add_co_u32_e32 v54, vcc, v24, v54
	v_addc_co_u32_e32 v55, vcc, v25, v55, vcc
	global_store_dwordx4 v[54:55], v[34:37], off
	v_fma_f64 v[38:39], v[38:39], -2.0, v[26:27]
	v_lshlrev_b64 v[34:35], 4, v[64:65]
	v_mov_b32_e32 v36, v77
	v_mad_u64_u32 v[36:37], s[14:15], s13, v66, v[36:37]
	v_add_co_u32_e32 v34, vcc, v24, v34
	v_addc_co_u32_e32 v35, vcc, v25, v35, vcc
	global_store_dwordx4 v[34:35], v[50:53], off
	v_mov_b32_e32 v77, v36
	v_add_u32_e32 v50, 0x297, v174
	v_mad_u64_u32 v[36:37], s[14:15], s12, v50, 0
	v_fma_f64 v[32:33], v[90:91], s[22:23], v[86:87]
	v_lshlrev_b64 v[34:35], 4, v[76:77]
	v_mad_u64_u32 v[50:51], s[14:15], s13, v50, v[37:38]
	v_mul_f64 v[120:121], v[90:91], s[2:3]
	v_add_co_u32_e32 v34, vcc, v24, v34
	v_addc_co_u32_e32 v35, vcc, v25, v35, vcc
	v_add_u32_e32 v53, 0x374, v174
	v_mov_b32_e32 v37, v50
	v_mad_u64_u32 v[51:52], s[14:15], s12, v53, 0
	global_store_dwordx4 v[34:35], v[42:45], off
	v_lshlrev_b64 v[34:35], 4, v[36:37]
	v_mov_b32_e32 v36, v52
	v_add_co_u32_e32 v34, vcc, v24, v34
	v_addc_co_u32_e32 v35, vcc, v25, v35, vcc
	global_store_dwordx4 v[34:35], v[30:33], off
	v_add_u32_e32 v34, 0x451, v174
	v_fma_f64 v[48:49], v[120:121], 2.0, v[32:33]
	v_mad_u64_u32 v[36:37], s[14:15], s13, v53, v[36:37]
	v_mad_u64_u32 v[32:33], s[14:15], s12, v34, 0
	v_mov_b32_e32 v52, v36
	v_add_u32_e32 v36, 0x52e, v174
	v_mad_u64_u32 v[33:34], s[14:15], s13, v34, v[33:34]
	v_lshlrev_b64 v[30:31], 4, v[51:52]
	v_mad_u64_u32 v[34:35], s[14:15], s12, v36, 0
	v_add_co_u32_e32 v30, vcc, v24, v30
	v_addc_co_u32_e32 v31, vcc, v25, v31, vcc
	global_store_dwordx4 v[30:31], v[26:29], off
	v_add_u32_e32 v30, 0x60b, v174
	v_mov_b32_e32 v28, v35
	v_mad_u64_u32 v[28:29], s[14:15], s13, v36, v[28:29]
	v_lshlrev_b64 v[26:27], 4, v[32:33]
	v_add_u32_e32 v32, 0x6e8, v174
	v_mov_b32_e32 v35, v28
	v_mad_u64_u32 v[28:29], s[14:15], s12, v30, 0
	v_add_co_u32_e32 v26, vcc, v24, v26
	v_addc_co_u32_e32 v27, vcc, v25, v27, vcc
	v_mad_u64_u32 v[29:30], s[14:15], s13, v30, v[29:30]
	global_store_dwordx4 v[26:27], v[38:41], off
	v_lshlrev_b64 v[26:27], 4, v[34:35]
	v_mad_u64_u32 v[30:31], s[14:15], s12, v32, 0
	v_add_co_u32_e32 v26, vcc, v24, v26
	v_addc_co_u32_e32 v27, vcc, v25, v27, vcc
	global_store_dwordx4 v[26:27], v[46:49], off
	v_lshlrev_b64 v[26:27], 4, v[28:29]
	v_mov_b32_e32 v28, v31
	v_mad_u64_u32 v[28:29], s[14:15], s13, v32, v[28:29]
	v_add_co_u32_e32 v26, vcc, v24, v26
	v_addc_co_u32_e32 v27, vcc, v25, v27, vcc
	v_mov_b32_e32 v31, v28
	global_store_dwordx4 v[26:27], v[68:71], off
	v_lshlrev_b64 v[26:27], 4, v[30:31]
	v_add_co_u32_e32 v26, vcc, v24, v26
	v_addc_co_u32_e32 v27, vcc, v25, v27, vcc
	global_store_dwordx4 v[26:27], v[72:75], off
	s_and_b64 exec, exec, s[0:1]
	s_cbranch_execz .LBB0_22
; %bb.21:
	v_add_u32_e32 v92, 0x99, v174
	v_add_u32_e32 v26, 0xffffffbc, v174
	v_cndmask_b32_e64 v26, v26, v92, s[0:1]
	v_lshlrev_b32_e32 v66, 3, v26
	v_lshlrev_b64 v[26:27], 4, v[66:67]
	v_mov_b32_e32 v28, s9
	v_add_co_u32_e32 v54, vcc, s8, v26
	v_addc_co_u32_e32 v55, vcc, v28, v27, vcc
	global_load_dwordx4 v[26:29], v[54:55], off offset:3264
	global_load_dwordx4 v[30:33], v[54:55], off offset:3280
	;; [unrolled: 1-line block ×8, first 2 shown]
	v_mad_u64_u32 v[54:55], s[0:1], s12, v92, 0
	s_waitcnt vmcnt(7)
	v_mul_f64 v[68:69], v[18:19], v[28:29]
	v_mul_f64 v[28:29], v[10:11], v[28:29]
	s_waitcnt vmcnt(6)
	v_mul_f64 v[70:71], v[20:21], v[32:33]
	v_mul_f64 v[32:33], v[12:13], v[32:33]
	s_waitcnt vmcnt(5)
	v_mul_f64 v[72:73], v[22:23], v[36:37]
	v_mul_f64 v[36:37], v[14:15], v[36:37]
	s_waitcnt vmcnt(4)
	v_mul_f64 v[74:75], v[62:63], v[40:41]
	s_waitcnt vmcnt(0)
	v_mul_f64 v[82:83], v[60:61], v[66:67]
	v_mul_f64 v[66:67], v[56:57], v[66:67]
	;; [unrolled: 1-line block ×9, first 2 shown]
	v_fma_f64 v[10:11], v[10:11], v[26:27], -v[68:69]
	v_fma_f64 v[18:19], v[18:19], v[26:27], v[28:29]
	v_fma_f64 v[12:13], v[12:13], v[30:31], -v[70:71]
	v_fma_f64 v[20:21], v[20:21], v[30:31], v[32:33]
	;; [unrolled: 2-line block ×8, first 2 shown]
	v_add_f64 v[40:41], v[10:11], v[30:31]
	v_add_f64 v[42:43], v[18:19], v[32:33]
	v_add_f64 v[10:11], v[10:11], -v[30:31]
	v_add_f64 v[18:19], v[18:19], -v[32:33]
	v_add_f64 v[0:1], v[12:13], v[2:3]
	v_add_f64 v[44:45], v[20:21], v[6:7]
	;; [unrolled: 1-line block ×4, first 2 shown]
	v_add_f64 v[2:3], v[12:13], -v[2:3]
	v_add_f64 v[6:7], v[20:21], -v[6:7]
	;; [unrolled: 1-line block ×6, first 2 shown]
	v_mul_f64 v[34:35], v[10:11], s[24:25]
	v_mul_f64 v[36:37], v[18:19], s[24:25]
	v_fma_f64 v[50:51], v[40:41], s[20:21], v[8:9]
	v_add_f64 v[30:31], v[26:27], v[38:39]
	v_add_f64 v[32:33], v[28:29], v[4:5]
	;; [unrolled: 1-line block ×3, first 2 shown]
	v_mul_f64 v[56:57], v[20:21], s[6:7]
	v_mul_f64 v[58:59], v[22:23], s[6:7]
	;; [unrolled: 1-line block ×3, first 2 shown]
	v_fma_f64 v[52:53], v[42:43], s[20:21], v[16:17]
	v_add_f64 v[74:75], v[44:45], v[42:43]
	v_fma_f64 v[34:35], v[2:3], s[10:11], v[34:35]
	v_fma_f64 v[36:37], v[6:7], s[10:11], v[36:37]
	v_fma_f64 v[50:51], v[0:1], s[18:19], v[50:51]
	v_fma_f64 v[62:63], v[32:33], s[20:21], v[16:17]
	v_fma_f64 v[82:83], v[44:45], s[20:21], v[16:17]
	v_fma_f64 v[56:57], v[10:11], s[10:11], v[56:57]
	v_fma_f64 v[58:59], v[18:19], s[10:11], v[58:59]
	v_add_f64 v[84:85], v[30:31], v[72:73]
	v_fma_f64 v[78:79], v[6:7], s[6:7], -v[78:79]
	v_add_f64 v[72:73], v[46:47], v[72:73]
	v_fma_f64 v[52:53], v[44:45], s[18:19], v[52:53]
	v_add_f64 v[86:87], v[32:33], v[74:75]
	v_add_f64 v[74:75], v[48:49], v[74:75]
	v_fma_f64 v[34:35], v[12:13], s[2:3], v[34:35]
	v_fma_f64 v[36:37], v[14:15], s[2:3], v[36:37]
	v_fma_f64 v[50:51], v[46:47], -0.5, v[50:51]
	v_fma_f64 v[60:61], v[30:31], s[20:21], v[8:9]
	v_mul_f64 v[76:77], v[20:21], s[10:11]
	v_fma_f64 v[62:63], v[42:43], s[18:19], v[62:63]
	v_fma_f64 v[82:83], v[32:33], s[18:19], v[82:83]
	v_fma_f64 v[56:57], v[12:13], s[22:23], v[56:57]
	v_fma_f64 v[58:59], v[14:15], s[22:23], v[58:59]
	v_fma_f64 v[14:15], v[14:15], s[2:3], v[78:79]
	v_add_f64 v[26:27], v[26:27], v[72:73]
	v_add_f64 v[64:65], v[20:21], v[10:11]
	;; [unrolled: 1-line block ×3, first 2 shown]
	v_fma_f64 v[80:81], v[0:1], s[20:21], v[8:9]
	v_fma_f64 v[52:53], v[48:49], -0.5, v[52:53]
	v_add_f64 v[28:29], v[28:29], v[74:75]
	v_fma_f64 v[34:35], v[20:21], s[4:5], v[34:35]
	v_fma_f64 v[22:23], v[22:23], s[4:5], v[36:37]
	;; [unrolled: 1-line block ×4, first 2 shown]
	v_add_f64 v[70:71], v[16:17], v[48:49]
	v_fma_f64 v[76:77], v[2:3], s[6:7], -v[76:77]
	v_fma_f64 v[62:63], v[48:49], -0.5, v[62:63]
	v_fma_f64 v[48:49], v[48:49], -0.5, v[82:83]
	v_fma_f64 v[36:37], v[2:3], s[4:5], v[56:57]
	v_fma_f64 v[56:57], v[18:19], s[4:5], v[14:15]
	v_add_f64 v[14:15], v[38:39], v[26:27]
	v_fma_f64 v[80:81], v[30:31], s[18:19], v[80:81]
	v_fma_f64 v[30:31], v[32:33], s[16:17], v[52:53]
	v_add_f64 v[38:39], v[4:5], v[28:29]
	v_add_f64 v[4:5], v[22:23], v[20:21]
	v_fma_f64 v[60:61], v[46:47], -0.5, v[60:61]
	v_add_f64 v[68:69], v[8:9], v[46:47]
	v_fma_f64 v[12:13], v[12:13], s[2:3], v[76:77]
	v_fma_f64 v[44:45], v[44:45], s[16:17], v[62:63]
	;; [unrolled: 1-line block ×3, first 2 shown]
	v_add_f64 v[14:15], v[8:9], v[14:15]
	v_mov_b32_e32 v8, v55
	v_add_u32_e32 v42, 0x176, v174
	v_add_f64 v[66:67], v[66:67], -v[6:7]
	v_fma_f64 v[50:51], v[6:7], s[4:5], v[58:59]
	v_add_f64 v[6:7], v[30:31], -v[34:35]
	v_fma_f64 v[30:31], v[22:23], -2.0, v[4:5]
	v_mad_u64_u32 v[8:9], s[0:1], s13, v92, v[8:9]
	v_mad_u64_u32 v[22:23], s[0:1], s12, v42, 0
	v_add_f64 v[16:17], v[16:17], v[38:39]
	v_mov_b32_e32 v55, v8
	v_mad_u64_u32 v[42:43], s[0:1], s13, v42, v[23:24]
	v_lshlrev_b64 v[8:9], 4, v[54:55]
	v_fma_f64 v[32:33], v[0:1], s[16:17], v[60:61]
	v_fma_f64 v[52:53], v[10:11], s[4:5], v[12:13]
	v_add_f64 v[12:13], v[44:45], -v[36:37]
	v_add_co_u32_e32 v8, vcc, v24, v8
	v_add_u32_e32 v45, 0x253, v174
	v_addc_co_u32_e32 v9, vcc, v25, v9, vcc
	v_mad_u64_u32 v[43:44], s[0:1], s12, v45, 0
	v_mov_b32_e32 v23, v42
	global_store_dwordx4 v[8:9], v[14:17], off
	v_lshlrev_b64 v[8:9], 4, v[22:23]
	v_add_f64 v[64:65], v[64:65], -v[2:3]
	v_fma_f64 v[68:69], v[84:85], -0.5, v[68:69]
	v_fma_f64 v[70:71], v[86:87], -0.5, v[70:71]
	v_fma_f64 v[46:47], v[46:47], -0.5, v[80:81]
	v_add_co_u32_e32 v8, vcc, v24, v8
	v_mov_b32_e32 v14, v44
	v_addc_co_u32_e32 v9, vcc, v25, v9, vcc
	v_mad_u64_u32 v[14:15], s[0:1], s13, v45, v[14:15]
	global_store_dwordx4 v[8:9], v[4:7], off
	v_add_u32_e32 v8, 0x330, v174
	v_add_f64 v[10:11], v[50:51], v[32:33]
	v_fma_f64 v[32:33], v[34:35], 2.0, v[6:7]
	v_mad_u64_u32 v[6:7], s[0:1], s12, v8, 0
	v_mov_b32_e32 v44, v14
	v_fma_f64 v[0:1], v[66:67], s[2:3], v[68:69]
	v_fma_f64 v[2:3], v[64:65], s[22:23], v[70:71]
	;; [unrolled: 1-line block ×3, first 2 shown]
	v_lshlrev_b64 v[4:5], 4, v[43:44]
	v_mad_u64_u32 v[7:8], s[0:1], s13, v8, v[7:8]
	v_mul_f64 v[88:89], v[64:65], s[2:3]
	v_add_co_u32_e32 v4, vcc, v24, v4
	v_addc_co_u32_e32 v5, vcc, v25, v5, vcc
	v_add_u32_e32 v14, 0x40d, v174
	v_mad_u64_u32 v[8:9], s[0:1], s12, v14, 0
	global_store_dwordx4 v[4:5], v[10:13], off
	v_lshlrev_b64 v[4:5], 4, v[6:7]
	v_mul_f64 v[90:91], v[66:67], s[2:3]
	v_add_co_u32_e32 v4, vcc, v24, v4
	v_addc_co_u32_e32 v5, vcc, v25, v5, vcc
	v_add_f64 v[26:27], v[56:57], v[26:27]
	v_add_f64 v[28:29], v[28:29], -v[52:53]
	v_mov_b32_e32 v6, v9
	global_store_dwordx4 v[4:5], v[0:3], off
	v_add_u32_e32 v4, 0x4ea, v174
	v_fma_f64 v[20:21], v[88:89], 2.0, v[2:3]
	v_mad_u64_u32 v[6:7], s[0:1], s13, v14, v[6:7]
	v_mad_u64_u32 v[2:3], s[0:1], s12, v4, 0
	v_mov_b32_e32 v9, v6
	v_add_u32_e32 v6, 0x5c7, v174
	v_mad_u64_u32 v[3:4], s[0:1], s13, v4, v[3:4]
	v_fma_f64 v[18:19], v[90:91], -2.0, v[0:1]
	v_lshlrev_b64 v[0:1], 4, v[8:9]
	v_mad_u64_u32 v[4:5], s[0:1], s12, v6, 0
	v_fma_f64 v[38:39], v[56:57], -2.0, v[26:27]
	v_fma_f64 v[40:41], v[52:53], 2.0, v[28:29]
	v_add_co_u32_e32 v0, vcc, v24, v0
	v_addc_co_u32_e32 v1, vcc, v25, v1, vcc
	global_store_dwordx4 v[0:1], v[26:29], off
	v_lshlrev_b64 v[0:1], 4, v[2:3]
	v_mov_b32_e32 v2, v5
	v_mad_u64_u32 v[2:3], s[0:1], s13, v6, v[2:3]
	v_add_co_u32_e32 v0, vcc, v24, v0
	v_addc_co_u32_e32 v1, vcc, v25, v1, vcc
	v_mov_b32_e32 v5, v2
	global_store_dwordx4 v[0:1], v[38:41], off
	v_lshlrev_b64 v[0:1], 4, v[4:5]
	v_add_u32_e32 v4, 0x6a4, v174
	v_mad_u64_u32 v[2:3], s[0:1], s12, v4, 0
	v_add_u32_e32 v6, 0x781, v174
	v_fma_f64 v[34:35], v[50:51], -2.0, v[10:11]
	v_mad_u64_u32 v[3:4], s[0:1], s13, v4, v[3:4]
	v_mad_u64_u32 v[4:5], s[0:1], s12, v6, 0
	v_fma_f64 v[36:37], v[36:37], 2.0, v[12:13]
	v_add_co_u32_e32 v0, vcc, v24, v0
	v_addc_co_u32_e32 v1, vcc, v25, v1, vcc
	global_store_dwordx4 v[0:1], v[18:21], off
	v_lshlrev_b64 v[0:1], 4, v[2:3]
	v_mov_b32_e32 v2, v5
	v_mad_u64_u32 v[2:3], s[0:1], s13, v6, v[2:3]
	v_add_co_u32_e32 v0, vcc, v24, v0
	v_addc_co_u32_e32 v1, vcc, v25, v1, vcc
	v_mov_b32_e32 v5, v2
	global_store_dwordx4 v[0:1], v[34:37], off
	v_lshlrev_b64 v[0:1], 4, v[4:5]
	v_add_co_u32_e32 v0, vcc, v24, v0
	v_addc_co_u32_e32 v1, vcc, v25, v1, vcc
	global_store_dwordx4 v[0:1], v[30:33], off
.LBB0_22:
	s_endpgm
	.section	.rodata,"a",@progbits
	.p2align	6, 0x0
	.amdhsa_kernel fft_rtc_fwd_len1989_factors_17_13_9_wgs_153_tpt_153_halfLds_dp_ip_CI_sbrr_dirReg
		.amdhsa_group_segment_fixed_size 0
		.amdhsa_private_segment_fixed_size 0
		.amdhsa_kernarg_size 88
		.amdhsa_user_sgpr_count 6
		.amdhsa_user_sgpr_private_segment_buffer 1
		.amdhsa_user_sgpr_dispatch_ptr 0
		.amdhsa_user_sgpr_queue_ptr 0
		.amdhsa_user_sgpr_kernarg_segment_ptr 1
		.amdhsa_user_sgpr_dispatch_id 0
		.amdhsa_user_sgpr_flat_scratch_init 0
		.amdhsa_user_sgpr_private_segment_size 0
		.amdhsa_uses_dynamic_stack 0
		.amdhsa_system_sgpr_private_segment_wavefront_offset 0
		.amdhsa_system_sgpr_workgroup_id_x 1
		.amdhsa_system_sgpr_workgroup_id_y 0
		.amdhsa_system_sgpr_workgroup_id_z 0
		.amdhsa_system_sgpr_workgroup_info 0
		.amdhsa_system_vgpr_workitem_id 0
		.amdhsa_next_free_vgpr 251
		.amdhsa_next_free_sgpr 60
		.amdhsa_reserve_vcc 1
		.amdhsa_reserve_flat_scratch 0
		.amdhsa_float_round_mode_32 0
		.amdhsa_float_round_mode_16_64 0
		.amdhsa_float_denorm_mode_32 3
		.amdhsa_float_denorm_mode_16_64 3
		.amdhsa_dx10_clamp 1
		.amdhsa_ieee_mode 1
		.amdhsa_fp16_overflow 0
		.amdhsa_exception_fp_ieee_invalid_op 0
		.amdhsa_exception_fp_denorm_src 0
		.amdhsa_exception_fp_ieee_div_zero 0
		.amdhsa_exception_fp_ieee_overflow 0
		.amdhsa_exception_fp_ieee_underflow 0
		.amdhsa_exception_fp_ieee_inexact 0
		.amdhsa_exception_int_div_zero 0
	.end_amdhsa_kernel
	.text
.Lfunc_end0:
	.size	fft_rtc_fwd_len1989_factors_17_13_9_wgs_153_tpt_153_halfLds_dp_ip_CI_sbrr_dirReg, .Lfunc_end0-fft_rtc_fwd_len1989_factors_17_13_9_wgs_153_tpt_153_halfLds_dp_ip_CI_sbrr_dirReg
                                        ; -- End function
	.section	.AMDGPU.csdata,"",@progbits
; Kernel info:
; codeLenInByte = 17432
; NumSgprs: 64
; NumVgprs: 251
; ScratchSize: 0
; MemoryBound: 1
; FloatMode: 240
; IeeeMode: 1
; LDSByteSize: 0 bytes/workgroup (compile time only)
; SGPRBlocks: 7
; VGPRBlocks: 62
; NumSGPRsForWavesPerEU: 64
; NumVGPRsForWavesPerEU: 251
; Occupancy: 1
; WaveLimiterHint : 1
; COMPUTE_PGM_RSRC2:SCRATCH_EN: 0
; COMPUTE_PGM_RSRC2:USER_SGPR: 6
; COMPUTE_PGM_RSRC2:TRAP_HANDLER: 0
; COMPUTE_PGM_RSRC2:TGID_X_EN: 1
; COMPUTE_PGM_RSRC2:TGID_Y_EN: 0
; COMPUTE_PGM_RSRC2:TGID_Z_EN: 0
; COMPUTE_PGM_RSRC2:TIDIG_COMP_CNT: 0
	.type	__hip_cuid_e8ee15b4847c6da2,@object ; @__hip_cuid_e8ee15b4847c6da2
	.section	.bss,"aw",@nobits
	.globl	__hip_cuid_e8ee15b4847c6da2
__hip_cuid_e8ee15b4847c6da2:
	.byte	0                               ; 0x0
	.size	__hip_cuid_e8ee15b4847c6da2, 1

	.ident	"AMD clang version 19.0.0git (https://github.com/RadeonOpenCompute/llvm-project roc-6.4.0 25133 c7fe45cf4b819c5991fe208aaa96edf142730f1d)"
	.section	".note.GNU-stack","",@progbits
	.addrsig
	.addrsig_sym __hip_cuid_e8ee15b4847c6da2
	.amdgpu_metadata
---
amdhsa.kernels:
  - .args:
      - .actual_access:  read_only
        .address_space:  global
        .offset:         0
        .size:           8
        .value_kind:     global_buffer
      - .offset:         8
        .size:           8
        .value_kind:     by_value
      - .actual_access:  read_only
        .address_space:  global
        .offset:         16
        .size:           8
        .value_kind:     global_buffer
      - .actual_access:  read_only
        .address_space:  global
        .offset:         24
        .size:           8
        .value_kind:     global_buffer
      - .offset:         32
        .size:           8
        .value_kind:     by_value
      - .actual_access:  read_only
        .address_space:  global
        .offset:         40
        .size:           8
        .value_kind:     global_buffer
      - .actual_access:  read_only
        .address_space:  global
        .offset:         48
        .size:           8
        .value_kind:     global_buffer
      - .offset:         56
        .size:           4
        .value_kind:     by_value
      - .actual_access:  read_only
        .address_space:  global
        .offset:         64
        .size:           8
        .value_kind:     global_buffer
      - .actual_access:  read_only
        .address_space:  global
        .offset:         72
        .size:           8
        .value_kind:     global_buffer
      - .address_space:  global
        .offset:         80
        .size:           8
        .value_kind:     global_buffer
    .group_segment_fixed_size: 0
    .kernarg_segment_align: 8
    .kernarg_segment_size: 88
    .language:       OpenCL C
    .language_version:
      - 2
      - 0
    .max_flat_workgroup_size: 153
    .name:           fft_rtc_fwd_len1989_factors_17_13_9_wgs_153_tpt_153_halfLds_dp_ip_CI_sbrr_dirReg
    .private_segment_fixed_size: 0
    .sgpr_count:     64
    .sgpr_spill_count: 0
    .symbol:         fft_rtc_fwd_len1989_factors_17_13_9_wgs_153_tpt_153_halfLds_dp_ip_CI_sbrr_dirReg.kd
    .uniform_work_group_size: 1
    .uses_dynamic_stack: false
    .vgpr_count:     251
    .vgpr_spill_count: 0
    .wavefront_size: 64
amdhsa.target:   amdgcn-amd-amdhsa--gfx906
amdhsa.version:
  - 1
  - 2
...

	.end_amdgpu_metadata
